;; amdgpu-corpus repo=zjin-lcf/HeCBench kind=compiled arch=gfx906 opt=O3
	.amdgcn_target "amdgcn-amd-amdhsa--gfx906"
	.amdhsa_code_object_version 6
	.section	.text._Z19threads_copy_kernelIiLi1EEvPKT_PS0_m,"axG",@progbits,_Z19threads_copy_kernelIiLi1EEvPKT_PS0_m,comdat
	.protected	_Z19threads_copy_kernelIiLi1EEvPKT_PS0_m ; -- Begin function _Z19threads_copy_kernelIiLi1EEvPKT_PS0_m
	.globl	_Z19threads_copy_kernelIiLi1EEvPKT_PS0_m
	.p2align	8
	.type	_Z19threads_copy_kernelIiLi1EEvPKT_PS0_m,@function
_Z19threads_copy_kernelIiLi1EEvPKT_PS0_m: ; @_Z19threads_copy_kernelIiLi1EEvPKT_PS0_m
; %bb.0:
	s_load_dword s2, s[4:5], 0x24
	s_load_dwordx2 s[0:1], s[4:5], 0x10
	v_mov_b32_e32 v1, 0
	v_mov_b32_e32 v2, s6
	s_waitcnt lgkmcnt(0)
	s_and_b32 s2, s2, 0xffff
	v_mad_u64_u32 v[0:1], s[2:3], s2, v2, v[0:1]
	v_cmp_ne_u64_e32 vcc, s[0:1], v[0:1]
	s_and_saveexec_b64 s[0:1], vcc
	s_cbranch_execz .LBB0_2
; %bb.1:
	s_load_dwordx4 s[0:3], s[4:5], 0x0
	v_lshlrev_b64 v[0:1], 2, v[0:1]
	s_waitcnt lgkmcnt(0)
	v_mov_b32_e32 v3, s1
	v_add_co_u32_e32 v2, vcc, s0, v0
	v_addc_co_u32_e32 v3, vcc, v3, v1, vcc
	global_load_dword v2, v[2:3], off
	v_mov_b32_e32 v3, s3
	v_add_co_u32_e32 v0, vcc, s2, v0
	v_addc_co_u32_e32 v1, vcc, v3, v1, vcc
	s_waitcnt vmcnt(0)
	global_store_dword v[0:1], v2, off
.LBB0_2:
	s_endpgm
	.section	.rodata,"a",@progbits
	.p2align	6, 0x0
	.amdhsa_kernel _Z19threads_copy_kernelIiLi1EEvPKT_PS0_m
		.amdhsa_group_segment_fixed_size 0
		.amdhsa_private_segment_fixed_size 0
		.amdhsa_kernarg_size 280
		.amdhsa_user_sgpr_count 6
		.amdhsa_user_sgpr_private_segment_buffer 1
		.amdhsa_user_sgpr_dispatch_ptr 0
		.amdhsa_user_sgpr_queue_ptr 0
		.amdhsa_user_sgpr_kernarg_segment_ptr 1
		.amdhsa_user_sgpr_dispatch_id 0
		.amdhsa_user_sgpr_flat_scratch_init 0
		.amdhsa_user_sgpr_private_segment_size 0
		.amdhsa_uses_dynamic_stack 0
		.amdhsa_system_sgpr_private_segment_wavefront_offset 0
		.amdhsa_system_sgpr_workgroup_id_x 1
		.amdhsa_system_sgpr_workgroup_id_y 0
		.amdhsa_system_sgpr_workgroup_id_z 0
		.amdhsa_system_sgpr_workgroup_info 0
		.amdhsa_system_vgpr_workitem_id 0
		.amdhsa_next_free_vgpr 4
		.amdhsa_next_free_sgpr 7
		.amdhsa_reserve_vcc 1
		.amdhsa_reserve_flat_scratch 0
		.amdhsa_float_round_mode_32 0
		.amdhsa_float_round_mode_16_64 0
		.amdhsa_float_denorm_mode_32 3
		.amdhsa_float_denorm_mode_16_64 3
		.amdhsa_dx10_clamp 1
		.amdhsa_ieee_mode 1
		.amdhsa_fp16_overflow 0
		.amdhsa_exception_fp_ieee_invalid_op 0
		.amdhsa_exception_fp_denorm_src 0
		.amdhsa_exception_fp_ieee_div_zero 0
		.amdhsa_exception_fp_ieee_overflow 0
		.amdhsa_exception_fp_ieee_underflow 0
		.amdhsa_exception_fp_ieee_inexact 0
		.amdhsa_exception_int_div_zero 0
	.end_amdhsa_kernel
	.section	.text._Z19threads_copy_kernelIiLi1EEvPKT_PS0_m,"axG",@progbits,_Z19threads_copy_kernelIiLi1EEvPKT_PS0_m,comdat
.Lfunc_end0:
	.size	_Z19threads_copy_kernelIiLi1EEvPKT_PS0_m, .Lfunc_end0-_Z19threads_copy_kernelIiLi1EEvPKT_PS0_m
                                        ; -- End function
	.set _Z19threads_copy_kernelIiLi1EEvPKT_PS0_m.num_vgpr, 4
	.set _Z19threads_copy_kernelIiLi1EEvPKT_PS0_m.num_agpr, 0
	.set _Z19threads_copy_kernelIiLi1EEvPKT_PS0_m.numbered_sgpr, 7
	.set _Z19threads_copy_kernelIiLi1EEvPKT_PS0_m.num_named_barrier, 0
	.set _Z19threads_copy_kernelIiLi1EEvPKT_PS0_m.private_seg_size, 0
	.set _Z19threads_copy_kernelIiLi1EEvPKT_PS0_m.uses_vcc, 1
	.set _Z19threads_copy_kernelIiLi1EEvPKT_PS0_m.uses_flat_scratch, 0
	.set _Z19threads_copy_kernelIiLi1EEvPKT_PS0_m.has_dyn_sized_stack, 0
	.set _Z19threads_copy_kernelIiLi1EEvPKT_PS0_m.has_recursion, 0
	.set _Z19threads_copy_kernelIiLi1EEvPKT_PS0_m.has_indirect_call, 0
	.section	.AMDGPU.csdata,"",@progbits
; Kernel info:
; codeLenInByte = 124
; TotalNumSgprs: 11
; NumVgprs: 4
; ScratchSize: 0
; MemoryBound: 0
; FloatMode: 240
; IeeeMode: 1
; LDSByteSize: 0 bytes/workgroup (compile time only)
; SGPRBlocks: 1
; VGPRBlocks: 0
; NumSGPRsForWavesPerEU: 11
; NumVGPRsForWavesPerEU: 4
; Occupancy: 10
; WaveLimiterHint : 0
; COMPUTE_PGM_RSRC2:SCRATCH_EN: 0
; COMPUTE_PGM_RSRC2:USER_SGPR: 6
; COMPUTE_PGM_RSRC2:TRAP_HANDLER: 0
; COMPUTE_PGM_RSRC2:TGID_X_EN: 1
; COMPUTE_PGM_RSRC2:TGID_Y_EN: 0
; COMPUTE_PGM_RSRC2:TGID_Z_EN: 0
; COMPUTE_PGM_RSRC2:TIDIG_COMP_CNT: 0
	.section	.text._Z19threads_copy_kernelIiLi2EEvPKT_PS0_m,"axG",@progbits,_Z19threads_copy_kernelIiLi2EEvPKT_PS0_m,comdat
	.protected	_Z19threads_copy_kernelIiLi2EEvPKT_PS0_m ; -- Begin function _Z19threads_copy_kernelIiLi2EEvPKT_PS0_m
	.globl	_Z19threads_copy_kernelIiLi2EEvPKT_PS0_m
	.p2align	8
	.type	_Z19threads_copy_kernelIiLi2EEvPKT_PS0_m,@function
_Z19threads_copy_kernelIiLi2EEvPKT_PS0_m: ; @_Z19threads_copy_kernelIiLi2EEvPKT_PS0_m
; %bb.0:
	s_load_dword s0, s[4:5], 0x24
	v_mov_b32_e32 v2, 0
	v_lshlrev_b32_e32 v1, 1, v0
	s_waitcnt lgkmcnt(0)
	s_and_b32 s7, s0, 0xffff
	s_lshl_b32 s0, s6, 1
	v_mov_b32_e32 v3, s7
	v_mad_u64_u32 v[1:2], s[0:1], s0, v3, v[1:2]
	s_load_dwordx2 s[8:9], s[4:5], 0x10
	s_load_dwordx4 s[0:3], s[4:5], 0x0
	s_lshr_b32 s4, s6, 31
	s_mul_i32 s4, s4, s7
	v_add_u32_e32 v2, s4, v2
	s_waitcnt lgkmcnt(0)
	v_mov_b32_e32 v4, s9
	v_sub_co_u32_e32 v3, vcc, s8, v1
	v_subb_co_u32_e32 v4, vcc, v4, v2, vcc
	v_cmp_lt_u64_e32 vcc, 1, v[3:4]
	s_and_saveexec_b64 s[4:5], vcc
	s_xor_b64 s[4:5], exec, s[4:5]
	s_cbranch_execz .LBB1_2
; %bb.1:
	v_lshlrev_b64 v[0:1], 2, v[1:2]
	v_mov_b32_e32 v3, s1
	v_add_co_u32_e32 v2, vcc, s0, v0
	v_addc_co_u32_e32 v3, vcc, v3, v1, vcc
	global_load_dwordx2 v[2:3], v[2:3], off
	v_mov_b32_e32 v4, s3
	v_add_co_u32_e32 v0, vcc, s2, v0
	v_addc_co_u32_e32 v1, vcc, v4, v1, vcc
	s_waitcnt vmcnt(0)
	global_store_dwordx2 v[0:1], v[2:3], off
                                        ; implicit-def: $vgpr1_vgpr2
                                        ; implicit-def: $vgpr0
.LBB1_2:
	s_andn2_saveexec_b64 s[4:5], s[4:5]
	s_cbranch_execz .LBB1_6
; %bb.3:
	v_cmp_gt_u64_e32 vcc, s[8:9], v[1:2]
	s_and_saveexec_b64 s[4:5], vcc
	s_cbranch_execz .LBB1_6
; %bb.4:
	s_mul_hi_u32 s5, s6, s7
	s_mul_i32 s4, s6, s7
	s_lshl_b64 s[4:5], s[4:5], 3
	v_lshlrev_b32_e32 v0, 3, v0
	v_mov_b32_e32 v3, s5
	v_add_co_u32_e32 v0, vcc, s4, v0
	v_addc_co_u32_e32 v6, vcc, 0, v3, vcc
	v_mov_b32_e32 v4, s3
	v_add_co_u32_e32 v3, vcc, s2, v0
	v_addc_co_u32_e32 v4, vcc, v4, v6, vcc
	;; [unrolled: 3-line block ×3, first 2 shown]
	s_mov_b64 s[0:1], 0
.LBB1_5:                                ; =>This Inner Loop Header: Depth=1
	global_load_dword v0, v[5:6], off
	v_add_co_u32_e32 v1, vcc, 1, v1
	v_addc_co_u32_e32 v2, vcc, 0, v2, vcc
	v_add_co_u32_e32 v5, vcc, 4, v5
	v_addc_co_u32_e32 v6, vcc, 0, v6, vcc
	v_cmp_le_u64_e32 vcc, s[8:9], v[1:2]
	s_or_b64 s[0:1], vcc, s[0:1]
	s_waitcnt vmcnt(0)
	global_store_dword v[3:4], v0, off
	v_add_co_u32_e32 v3, vcc, 4, v3
	v_addc_co_u32_e32 v4, vcc, 0, v4, vcc
	s_andn2_b64 exec, exec, s[0:1]
	s_cbranch_execnz .LBB1_5
.LBB1_6:
	s_endpgm
	.section	.rodata,"a",@progbits
	.p2align	6, 0x0
	.amdhsa_kernel _Z19threads_copy_kernelIiLi2EEvPKT_PS0_m
		.amdhsa_group_segment_fixed_size 0
		.amdhsa_private_segment_fixed_size 0
		.amdhsa_kernarg_size 280
		.amdhsa_user_sgpr_count 6
		.amdhsa_user_sgpr_private_segment_buffer 1
		.amdhsa_user_sgpr_dispatch_ptr 0
		.amdhsa_user_sgpr_queue_ptr 0
		.amdhsa_user_sgpr_kernarg_segment_ptr 1
		.amdhsa_user_sgpr_dispatch_id 0
		.amdhsa_user_sgpr_flat_scratch_init 0
		.amdhsa_user_sgpr_private_segment_size 0
		.amdhsa_uses_dynamic_stack 0
		.amdhsa_system_sgpr_private_segment_wavefront_offset 0
		.amdhsa_system_sgpr_workgroup_id_x 1
		.amdhsa_system_sgpr_workgroup_id_y 0
		.amdhsa_system_sgpr_workgroup_id_z 0
		.amdhsa_system_sgpr_workgroup_info 0
		.amdhsa_system_vgpr_workitem_id 0
		.amdhsa_next_free_vgpr 8
		.amdhsa_next_free_sgpr 10
		.amdhsa_reserve_vcc 1
		.amdhsa_reserve_flat_scratch 0
		.amdhsa_float_round_mode_32 0
		.amdhsa_float_round_mode_16_64 0
		.amdhsa_float_denorm_mode_32 3
		.amdhsa_float_denorm_mode_16_64 3
		.amdhsa_dx10_clamp 1
		.amdhsa_ieee_mode 1
		.amdhsa_fp16_overflow 0
		.amdhsa_exception_fp_ieee_invalid_op 0
		.amdhsa_exception_fp_denorm_src 0
		.amdhsa_exception_fp_ieee_div_zero 0
		.amdhsa_exception_fp_ieee_overflow 0
		.amdhsa_exception_fp_ieee_underflow 0
		.amdhsa_exception_fp_ieee_inexact 0
		.amdhsa_exception_int_div_zero 0
	.end_amdhsa_kernel
	.section	.text._Z19threads_copy_kernelIiLi2EEvPKT_PS0_m,"axG",@progbits,_Z19threads_copy_kernelIiLi2EEvPKT_PS0_m,comdat
.Lfunc_end1:
	.size	_Z19threads_copy_kernelIiLi2EEvPKT_PS0_m, .Lfunc_end1-_Z19threads_copy_kernelIiLi2EEvPKT_PS0_m
                                        ; -- End function
	.set _Z19threads_copy_kernelIiLi2EEvPKT_PS0_m.num_vgpr, 8
	.set _Z19threads_copy_kernelIiLi2EEvPKT_PS0_m.num_agpr, 0
	.set _Z19threads_copy_kernelIiLi2EEvPKT_PS0_m.numbered_sgpr, 10
	.set _Z19threads_copy_kernelIiLi2EEvPKT_PS0_m.num_named_barrier, 0
	.set _Z19threads_copy_kernelIiLi2EEvPKT_PS0_m.private_seg_size, 0
	.set _Z19threads_copy_kernelIiLi2EEvPKT_PS0_m.uses_vcc, 1
	.set _Z19threads_copy_kernelIiLi2EEvPKT_PS0_m.uses_flat_scratch, 0
	.set _Z19threads_copy_kernelIiLi2EEvPKT_PS0_m.has_dyn_sized_stack, 0
	.set _Z19threads_copy_kernelIiLi2EEvPKT_PS0_m.has_recursion, 0
	.set _Z19threads_copy_kernelIiLi2EEvPKT_PS0_m.has_indirect_call, 0
	.section	.AMDGPU.csdata,"",@progbits
; Kernel info:
; codeLenInByte = 296
; TotalNumSgprs: 14
; NumVgprs: 8
; ScratchSize: 0
; MemoryBound: 0
; FloatMode: 240
; IeeeMode: 1
; LDSByteSize: 0 bytes/workgroup (compile time only)
; SGPRBlocks: 1
; VGPRBlocks: 1
; NumSGPRsForWavesPerEU: 14
; NumVGPRsForWavesPerEU: 8
; Occupancy: 10
; WaveLimiterHint : 0
; COMPUTE_PGM_RSRC2:SCRATCH_EN: 0
; COMPUTE_PGM_RSRC2:USER_SGPR: 6
; COMPUTE_PGM_RSRC2:TRAP_HANDLER: 0
; COMPUTE_PGM_RSRC2:TGID_X_EN: 1
; COMPUTE_PGM_RSRC2:TGID_Y_EN: 0
; COMPUTE_PGM_RSRC2:TGID_Z_EN: 0
; COMPUTE_PGM_RSRC2:TIDIG_COMP_CNT: 0
	.section	.text._Z19threads_copy_kernelIiLi4EEvPKT_PS0_m,"axG",@progbits,_Z19threads_copy_kernelIiLi4EEvPKT_PS0_m,comdat
	.protected	_Z19threads_copy_kernelIiLi4EEvPKT_PS0_m ; -- Begin function _Z19threads_copy_kernelIiLi4EEvPKT_PS0_m
	.globl	_Z19threads_copy_kernelIiLi4EEvPKT_PS0_m
	.p2align	8
	.type	_Z19threads_copy_kernelIiLi4EEvPKT_PS0_m,@function
_Z19threads_copy_kernelIiLi4EEvPKT_PS0_m: ; @_Z19threads_copy_kernelIiLi4EEvPKT_PS0_m
; %bb.0:
	s_load_dword s0, s[4:5], 0x24
	v_mov_b32_e32 v2, 0
	v_lshlrev_b32_e32 v1, 2, v0
	s_waitcnt lgkmcnt(0)
	s_and_b32 s7, s0, 0xffff
	s_lshl_b32 s0, s6, 2
	v_mov_b32_e32 v3, s7
	v_mad_u64_u32 v[1:2], s[0:1], s0, v3, v[1:2]
	s_load_dwordx2 s[8:9], s[4:5], 0x10
	s_load_dwordx4 s[0:3], s[4:5], 0x0
	s_lshr_b32 s4, s6, 30
	s_mul_i32 s4, s4, s7
	v_add_u32_e32 v2, s4, v2
	s_waitcnt lgkmcnt(0)
	v_mov_b32_e32 v4, s9
	v_sub_co_u32_e32 v3, vcc, s8, v1
	v_subb_co_u32_e32 v4, vcc, v4, v2, vcc
	v_cmp_lt_u64_e32 vcc, 3, v[3:4]
	s_and_saveexec_b64 s[4:5], vcc
	s_xor_b64 s[4:5], exec, s[4:5]
	s_cbranch_execz .LBB2_2
; %bb.1:
	v_lshlrev_b64 v[4:5], 2, v[1:2]
	v_mov_b32_e32 v1, s1
	v_add_co_u32_e32 v0, vcc, s0, v4
	v_addc_co_u32_e32 v1, vcc, v1, v5, vcc
	global_load_dwordx4 v[0:3], v[0:1], off
	v_mov_b32_e32 v6, s3
	v_add_co_u32_e32 v4, vcc, s2, v4
	v_addc_co_u32_e32 v5, vcc, v6, v5, vcc
	s_waitcnt vmcnt(0)
	global_store_dwordx4 v[4:5], v[0:3], off
                                        ; implicit-def: $vgpr1_vgpr2
                                        ; implicit-def: $vgpr0
.LBB2_2:
	s_andn2_saveexec_b64 s[4:5], s[4:5]
	s_cbranch_execz .LBB2_6
; %bb.3:
	v_cmp_gt_u64_e32 vcc, s[8:9], v[1:2]
	s_and_saveexec_b64 s[4:5], vcc
	s_cbranch_execz .LBB2_6
; %bb.4:
	s_mul_hi_u32 s5, s6, s7
	s_mul_i32 s4, s6, s7
	s_lshl_b64 s[4:5], s[4:5], 4
	v_lshlrev_b32_e32 v0, 4, v0
	v_mov_b32_e32 v3, s5
	v_add_co_u32_e32 v0, vcc, s4, v0
	v_addc_co_u32_e32 v6, vcc, 0, v3, vcc
	v_mov_b32_e32 v4, s3
	v_add_co_u32_e32 v3, vcc, s2, v0
	v_addc_co_u32_e32 v4, vcc, v4, v6, vcc
	;; [unrolled: 3-line block ×3, first 2 shown]
	s_mov_b64 s[0:1], 0
.LBB2_5:                                ; =>This Inner Loop Header: Depth=1
	global_load_dword v0, v[5:6], off
	v_add_co_u32_e32 v1, vcc, 1, v1
	v_addc_co_u32_e32 v2, vcc, 0, v2, vcc
	v_add_co_u32_e32 v5, vcc, 4, v5
	v_addc_co_u32_e32 v6, vcc, 0, v6, vcc
	v_cmp_le_u64_e32 vcc, s[8:9], v[1:2]
	s_or_b64 s[0:1], vcc, s[0:1]
	s_waitcnt vmcnt(0)
	global_store_dword v[3:4], v0, off
	v_add_co_u32_e32 v3, vcc, 4, v3
	v_addc_co_u32_e32 v4, vcc, 0, v4, vcc
	s_andn2_b64 exec, exec, s[0:1]
	s_cbranch_execnz .LBB2_5
.LBB2_6:
	s_endpgm
	.section	.rodata,"a",@progbits
	.p2align	6, 0x0
	.amdhsa_kernel _Z19threads_copy_kernelIiLi4EEvPKT_PS0_m
		.amdhsa_group_segment_fixed_size 0
		.amdhsa_private_segment_fixed_size 0
		.amdhsa_kernarg_size 280
		.amdhsa_user_sgpr_count 6
		.amdhsa_user_sgpr_private_segment_buffer 1
		.amdhsa_user_sgpr_dispatch_ptr 0
		.amdhsa_user_sgpr_queue_ptr 0
		.amdhsa_user_sgpr_kernarg_segment_ptr 1
		.amdhsa_user_sgpr_dispatch_id 0
		.amdhsa_user_sgpr_flat_scratch_init 0
		.amdhsa_user_sgpr_private_segment_size 0
		.amdhsa_uses_dynamic_stack 0
		.amdhsa_system_sgpr_private_segment_wavefront_offset 0
		.amdhsa_system_sgpr_workgroup_id_x 1
		.amdhsa_system_sgpr_workgroup_id_y 0
		.amdhsa_system_sgpr_workgroup_id_z 0
		.amdhsa_system_sgpr_workgroup_info 0
		.amdhsa_system_vgpr_workitem_id 0
		.amdhsa_next_free_vgpr 8
		.amdhsa_next_free_sgpr 10
		.amdhsa_reserve_vcc 1
		.amdhsa_reserve_flat_scratch 0
		.amdhsa_float_round_mode_32 0
		.amdhsa_float_round_mode_16_64 0
		.amdhsa_float_denorm_mode_32 3
		.amdhsa_float_denorm_mode_16_64 3
		.amdhsa_dx10_clamp 1
		.amdhsa_ieee_mode 1
		.amdhsa_fp16_overflow 0
		.amdhsa_exception_fp_ieee_invalid_op 0
		.amdhsa_exception_fp_denorm_src 0
		.amdhsa_exception_fp_ieee_div_zero 0
		.amdhsa_exception_fp_ieee_overflow 0
		.amdhsa_exception_fp_ieee_underflow 0
		.amdhsa_exception_fp_ieee_inexact 0
		.amdhsa_exception_int_div_zero 0
	.end_amdhsa_kernel
	.section	.text._Z19threads_copy_kernelIiLi4EEvPKT_PS0_m,"axG",@progbits,_Z19threads_copy_kernelIiLi4EEvPKT_PS0_m,comdat
.Lfunc_end2:
	.size	_Z19threads_copy_kernelIiLi4EEvPKT_PS0_m, .Lfunc_end2-_Z19threads_copy_kernelIiLi4EEvPKT_PS0_m
                                        ; -- End function
	.set _Z19threads_copy_kernelIiLi4EEvPKT_PS0_m.num_vgpr, 8
	.set _Z19threads_copy_kernelIiLi4EEvPKT_PS0_m.num_agpr, 0
	.set _Z19threads_copy_kernelIiLi4EEvPKT_PS0_m.numbered_sgpr, 10
	.set _Z19threads_copy_kernelIiLi4EEvPKT_PS0_m.num_named_barrier, 0
	.set _Z19threads_copy_kernelIiLi4EEvPKT_PS0_m.private_seg_size, 0
	.set _Z19threads_copy_kernelIiLi4EEvPKT_PS0_m.uses_vcc, 1
	.set _Z19threads_copy_kernelIiLi4EEvPKT_PS0_m.uses_flat_scratch, 0
	.set _Z19threads_copy_kernelIiLi4EEvPKT_PS0_m.has_dyn_sized_stack, 0
	.set _Z19threads_copy_kernelIiLi4EEvPKT_PS0_m.has_recursion, 0
	.set _Z19threads_copy_kernelIiLi4EEvPKT_PS0_m.has_indirect_call, 0
	.section	.AMDGPU.csdata,"",@progbits
; Kernel info:
; codeLenInByte = 296
; TotalNumSgprs: 14
; NumVgprs: 8
; ScratchSize: 0
; MemoryBound: 0
; FloatMode: 240
; IeeeMode: 1
; LDSByteSize: 0 bytes/workgroup (compile time only)
; SGPRBlocks: 1
; VGPRBlocks: 1
; NumSGPRsForWavesPerEU: 14
; NumVGPRsForWavesPerEU: 8
; Occupancy: 10
; WaveLimiterHint : 0
; COMPUTE_PGM_RSRC2:SCRATCH_EN: 0
; COMPUTE_PGM_RSRC2:USER_SGPR: 6
; COMPUTE_PGM_RSRC2:TRAP_HANDLER: 0
; COMPUTE_PGM_RSRC2:TGID_X_EN: 1
; COMPUTE_PGM_RSRC2:TGID_Y_EN: 0
; COMPUTE_PGM_RSRC2:TGID_Z_EN: 0
; COMPUTE_PGM_RSRC2:TIDIG_COMP_CNT: 0
	.section	.text._Z19threads_copy_kernelIiLi8EEvPKT_PS0_m,"axG",@progbits,_Z19threads_copy_kernelIiLi8EEvPKT_PS0_m,comdat
	.protected	_Z19threads_copy_kernelIiLi8EEvPKT_PS0_m ; -- Begin function _Z19threads_copy_kernelIiLi8EEvPKT_PS0_m
	.globl	_Z19threads_copy_kernelIiLi8EEvPKT_PS0_m
	.p2align	8
	.type	_Z19threads_copy_kernelIiLi8EEvPKT_PS0_m,@function
_Z19threads_copy_kernelIiLi8EEvPKT_PS0_m: ; @_Z19threads_copy_kernelIiLi8EEvPKT_PS0_m
; %bb.0:
	s_load_dword s0, s[4:5], 0x24
	v_mov_b32_e32 v2, 0
	v_lshlrev_b32_e32 v1, 3, v0
	s_waitcnt lgkmcnt(0)
	s_and_b32 s7, s0, 0xffff
	s_lshl_b32 s0, s6, 3
	v_mov_b32_e32 v3, s7
	v_mad_u64_u32 v[1:2], s[0:1], s0, v3, v[1:2]
	s_load_dwordx2 s[8:9], s[4:5], 0x10
	s_load_dwordx4 s[0:3], s[4:5], 0x0
	s_lshr_b32 s4, s6, 29
	s_mul_i32 s4, s4, s7
	v_add_u32_e32 v2, s4, v2
	s_waitcnt lgkmcnt(0)
	v_mov_b32_e32 v4, s9
	v_sub_co_u32_e32 v3, vcc, s8, v1
	v_subb_co_u32_e32 v4, vcc, v4, v2, vcc
	v_cmp_lt_u64_e32 vcc, 7, v[3:4]
	s_and_saveexec_b64 s[4:5], vcc
	s_xor_b64 s[4:5], exec, s[4:5]
	s_cbranch_execz .LBB3_2
; %bb.1:
	v_lshlrev_b64 v[4:5], 2, v[1:2]
	v_mov_b32_e32 v0, s1
	v_add_co_u32_e32 v6, vcc, s0, v4
	v_addc_co_u32_e32 v7, vcc, v0, v5, vcc
	global_load_dwordx4 v[0:3], v[6:7], off offset:16
	v_mov_b32_e32 v8, s3
	v_add_co_u32_e32 v4, vcc, s2, v4
	v_addc_co_u32_e32 v5, vcc, v8, v5, vcc
	s_waitcnt vmcnt(0)
	global_store_dwordx4 v[4:5], v[0:3], off offset:16
	global_load_dwordx4 v[0:3], v[6:7], off
	s_waitcnt vmcnt(0)
	global_store_dwordx4 v[4:5], v[0:3], off
                                        ; implicit-def: $vgpr1_vgpr2
                                        ; implicit-def: $vgpr0
.LBB3_2:
	s_andn2_saveexec_b64 s[4:5], s[4:5]
	s_cbranch_execz .LBB3_6
; %bb.3:
	v_cmp_gt_u64_e32 vcc, s[8:9], v[1:2]
	s_and_saveexec_b64 s[4:5], vcc
	s_cbranch_execz .LBB3_6
; %bb.4:
	s_mul_hi_u32 s5, s6, s7
	s_mul_i32 s4, s6, s7
	s_lshl_b64 s[4:5], s[4:5], 5
	v_lshlrev_b32_e32 v0, 5, v0
	v_mov_b32_e32 v3, s5
	v_add_co_u32_e32 v0, vcc, s4, v0
	v_addc_co_u32_e32 v6, vcc, 0, v3, vcc
	v_mov_b32_e32 v4, s3
	v_add_co_u32_e32 v3, vcc, s2, v0
	v_addc_co_u32_e32 v4, vcc, v4, v6, vcc
	v_mov_b32_e32 v7, s1
	v_add_co_u32_e32 v5, vcc, s0, v0
	v_addc_co_u32_e32 v6, vcc, v7, v6, vcc
	s_mov_b64 s[0:1], 0
.LBB3_5:                                ; =>This Inner Loop Header: Depth=1
	global_load_dword v0, v[5:6], off
	v_add_co_u32_e32 v1, vcc, 1, v1
	v_addc_co_u32_e32 v2, vcc, 0, v2, vcc
	v_add_co_u32_e32 v5, vcc, 4, v5
	v_addc_co_u32_e32 v6, vcc, 0, v6, vcc
	v_cmp_le_u64_e32 vcc, s[8:9], v[1:2]
	s_or_b64 s[0:1], vcc, s[0:1]
	s_waitcnt vmcnt(0)
	global_store_dword v[3:4], v0, off
	v_add_co_u32_e32 v3, vcc, 4, v3
	v_addc_co_u32_e32 v4, vcc, 0, v4, vcc
	s_andn2_b64 exec, exec, s[0:1]
	s_cbranch_execnz .LBB3_5
.LBB3_6:
	s_endpgm
	.section	.rodata,"a",@progbits
	.p2align	6, 0x0
	.amdhsa_kernel _Z19threads_copy_kernelIiLi8EEvPKT_PS0_m
		.amdhsa_group_segment_fixed_size 0
		.amdhsa_private_segment_fixed_size 0
		.amdhsa_kernarg_size 280
		.amdhsa_user_sgpr_count 6
		.amdhsa_user_sgpr_private_segment_buffer 1
		.amdhsa_user_sgpr_dispatch_ptr 0
		.amdhsa_user_sgpr_queue_ptr 0
		.amdhsa_user_sgpr_kernarg_segment_ptr 1
		.amdhsa_user_sgpr_dispatch_id 0
		.amdhsa_user_sgpr_flat_scratch_init 0
		.amdhsa_user_sgpr_private_segment_size 0
		.amdhsa_uses_dynamic_stack 0
		.amdhsa_system_sgpr_private_segment_wavefront_offset 0
		.amdhsa_system_sgpr_workgroup_id_x 1
		.amdhsa_system_sgpr_workgroup_id_y 0
		.amdhsa_system_sgpr_workgroup_id_z 0
		.amdhsa_system_sgpr_workgroup_info 0
		.amdhsa_system_vgpr_workitem_id 0
		.amdhsa_next_free_vgpr 9
		.amdhsa_next_free_sgpr 10
		.amdhsa_reserve_vcc 1
		.amdhsa_reserve_flat_scratch 0
		.amdhsa_float_round_mode_32 0
		.amdhsa_float_round_mode_16_64 0
		.amdhsa_float_denorm_mode_32 3
		.amdhsa_float_denorm_mode_16_64 3
		.amdhsa_dx10_clamp 1
		.amdhsa_ieee_mode 1
		.amdhsa_fp16_overflow 0
		.amdhsa_exception_fp_ieee_invalid_op 0
		.amdhsa_exception_fp_denorm_src 0
		.amdhsa_exception_fp_ieee_div_zero 0
		.amdhsa_exception_fp_ieee_overflow 0
		.amdhsa_exception_fp_ieee_underflow 0
		.amdhsa_exception_fp_ieee_inexact 0
		.amdhsa_exception_int_div_zero 0
	.end_amdhsa_kernel
	.section	.text._Z19threads_copy_kernelIiLi8EEvPKT_PS0_m,"axG",@progbits,_Z19threads_copy_kernelIiLi8EEvPKT_PS0_m,comdat
.Lfunc_end3:
	.size	_Z19threads_copy_kernelIiLi8EEvPKT_PS0_m, .Lfunc_end3-_Z19threads_copy_kernelIiLi8EEvPKT_PS0_m
                                        ; -- End function
	.set _Z19threads_copy_kernelIiLi8EEvPKT_PS0_m.num_vgpr, 9
	.set _Z19threads_copy_kernelIiLi8EEvPKT_PS0_m.num_agpr, 0
	.set _Z19threads_copy_kernelIiLi8EEvPKT_PS0_m.numbered_sgpr, 10
	.set _Z19threads_copy_kernelIiLi8EEvPKT_PS0_m.num_named_barrier, 0
	.set _Z19threads_copy_kernelIiLi8EEvPKT_PS0_m.private_seg_size, 0
	.set _Z19threads_copy_kernelIiLi8EEvPKT_PS0_m.uses_vcc, 1
	.set _Z19threads_copy_kernelIiLi8EEvPKT_PS0_m.uses_flat_scratch, 0
	.set _Z19threads_copy_kernelIiLi8EEvPKT_PS0_m.has_dyn_sized_stack, 0
	.set _Z19threads_copy_kernelIiLi8EEvPKT_PS0_m.has_recursion, 0
	.set _Z19threads_copy_kernelIiLi8EEvPKT_PS0_m.has_indirect_call, 0
	.section	.AMDGPU.csdata,"",@progbits
; Kernel info:
; codeLenInByte = 316
; TotalNumSgprs: 14
; NumVgprs: 9
; ScratchSize: 0
; MemoryBound: 0
; FloatMode: 240
; IeeeMode: 1
; LDSByteSize: 0 bytes/workgroup (compile time only)
; SGPRBlocks: 1
; VGPRBlocks: 2
; NumSGPRsForWavesPerEU: 14
; NumVGPRsForWavesPerEU: 9
; Occupancy: 10
; WaveLimiterHint : 0
; COMPUTE_PGM_RSRC2:SCRATCH_EN: 0
; COMPUTE_PGM_RSRC2:USER_SGPR: 6
; COMPUTE_PGM_RSRC2:TRAP_HANDLER: 0
; COMPUTE_PGM_RSRC2:TGID_X_EN: 1
; COMPUTE_PGM_RSRC2:TGID_Y_EN: 0
; COMPUTE_PGM_RSRC2:TGID_Z_EN: 0
; COMPUTE_PGM_RSRC2:TIDIG_COMP_CNT: 0
	.section	.text._Z19threads_copy_kernelIiLi16EEvPKT_PS0_m,"axG",@progbits,_Z19threads_copy_kernelIiLi16EEvPKT_PS0_m,comdat
	.protected	_Z19threads_copy_kernelIiLi16EEvPKT_PS0_m ; -- Begin function _Z19threads_copy_kernelIiLi16EEvPKT_PS0_m
	.globl	_Z19threads_copy_kernelIiLi16EEvPKT_PS0_m
	.p2align	8
	.type	_Z19threads_copy_kernelIiLi16EEvPKT_PS0_m,@function
_Z19threads_copy_kernelIiLi16EEvPKT_PS0_m: ; @_Z19threads_copy_kernelIiLi16EEvPKT_PS0_m
; %bb.0:
	s_load_dword s0, s[4:5], 0x24
	v_mov_b32_e32 v2, 0
	v_lshlrev_b32_e32 v1, 4, v0
	s_waitcnt lgkmcnt(0)
	s_and_b32 s7, s0, 0xffff
	s_lshl_b32 s0, s6, 4
	v_mov_b32_e32 v3, s7
	v_mad_u64_u32 v[1:2], s[0:1], s0, v3, v[1:2]
	s_load_dwordx2 s[8:9], s[4:5], 0x10
	s_load_dwordx4 s[0:3], s[4:5], 0x0
	s_lshr_b32 s4, s6, 28
	s_mul_i32 s4, s4, s7
	v_add_u32_e32 v2, s4, v2
	s_waitcnt lgkmcnt(0)
	v_mov_b32_e32 v4, s9
	v_sub_co_u32_e32 v3, vcc, s8, v1
	v_subb_co_u32_e32 v4, vcc, v4, v2, vcc
	v_cmp_lt_u64_e32 vcc, 15, v[3:4]
	s_and_saveexec_b64 s[4:5], vcc
	s_xor_b64 s[4:5], exec, s[4:5]
	s_cbranch_execz .LBB4_2
; %bb.1:
	v_lshlrev_b64 v[12:13], 2, v[1:2]
	v_mov_b32_e32 v0, s1
	v_add_co_u32_e32 v14, vcc, s0, v12
	v_addc_co_u32_e32 v15, vcc, v0, v13, vcc
	global_load_dwordx4 v[0:3], v[14:15], off offset:16
	global_load_dwordx4 v[4:7], v[14:15], off offset:32
	;; [unrolled: 1-line block ×3, first 2 shown]
	v_mov_b32_e32 v16, s3
	v_add_co_u32_e32 v12, vcc, s2, v12
	v_addc_co_u32_e32 v13, vcc, v16, v13, vcc
	s_waitcnt vmcnt(2)
	global_store_dwordx4 v[12:13], v[0:3], off offset:16
	s_waitcnt vmcnt(2)
	global_store_dwordx4 v[12:13], v[4:7], off offset:32
	;; [unrolled: 2-line block ×3, first 2 shown]
	global_load_dwordx4 v[0:3], v[14:15], off
	s_waitcnt vmcnt(0)
	global_store_dwordx4 v[12:13], v[0:3], off
                                        ; implicit-def: $vgpr1_vgpr2
                                        ; implicit-def: $vgpr0
.LBB4_2:
	s_andn2_saveexec_b64 s[4:5], s[4:5]
	s_cbranch_execz .LBB4_6
; %bb.3:
	v_cmp_gt_u64_e32 vcc, s[8:9], v[1:2]
	s_and_saveexec_b64 s[4:5], vcc
	s_cbranch_execz .LBB4_6
; %bb.4:
	s_mul_hi_u32 s5, s6, s7
	s_mul_i32 s4, s6, s7
	s_lshl_b64 s[4:5], s[4:5], 6
	v_lshlrev_b32_e32 v0, 6, v0
	v_mov_b32_e32 v3, s5
	v_add_co_u32_e32 v0, vcc, s4, v0
	v_addc_co_u32_e32 v6, vcc, 0, v3, vcc
	v_mov_b32_e32 v4, s3
	v_add_co_u32_e32 v3, vcc, s2, v0
	v_addc_co_u32_e32 v4, vcc, v4, v6, vcc
	;; [unrolled: 3-line block ×3, first 2 shown]
	s_mov_b64 s[0:1], 0
.LBB4_5:                                ; =>This Inner Loop Header: Depth=1
	global_load_dword v0, v[5:6], off
	v_add_co_u32_e32 v1, vcc, 1, v1
	v_addc_co_u32_e32 v2, vcc, 0, v2, vcc
	v_add_co_u32_e32 v5, vcc, 4, v5
	v_addc_co_u32_e32 v6, vcc, 0, v6, vcc
	v_cmp_le_u64_e32 vcc, s[8:9], v[1:2]
	s_or_b64 s[0:1], vcc, s[0:1]
	s_waitcnt vmcnt(0)
	global_store_dword v[3:4], v0, off
	v_add_co_u32_e32 v3, vcc, 4, v3
	v_addc_co_u32_e32 v4, vcc, 0, v4, vcc
	s_andn2_b64 exec, exec, s[0:1]
	s_cbranch_execnz .LBB4_5
.LBB4_6:
	s_endpgm
	.section	.rodata,"a",@progbits
	.p2align	6, 0x0
	.amdhsa_kernel _Z19threads_copy_kernelIiLi16EEvPKT_PS0_m
		.amdhsa_group_segment_fixed_size 0
		.amdhsa_private_segment_fixed_size 0
		.amdhsa_kernarg_size 280
		.amdhsa_user_sgpr_count 6
		.amdhsa_user_sgpr_private_segment_buffer 1
		.amdhsa_user_sgpr_dispatch_ptr 0
		.amdhsa_user_sgpr_queue_ptr 0
		.amdhsa_user_sgpr_kernarg_segment_ptr 1
		.amdhsa_user_sgpr_dispatch_id 0
		.amdhsa_user_sgpr_flat_scratch_init 0
		.amdhsa_user_sgpr_private_segment_size 0
		.amdhsa_uses_dynamic_stack 0
		.amdhsa_system_sgpr_private_segment_wavefront_offset 0
		.amdhsa_system_sgpr_workgroup_id_x 1
		.amdhsa_system_sgpr_workgroup_id_y 0
		.amdhsa_system_sgpr_workgroup_id_z 0
		.amdhsa_system_sgpr_workgroup_info 0
		.amdhsa_system_vgpr_workitem_id 0
		.amdhsa_next_free_vgpr 17
		.amdhsa_next_free_sgpr 10
		.amdhsa_reserve_vcc 1
		.amdhsa_reserve_flat_scratch 0
		.amdhsa_float_round_mode_32 0
		.amdhsa_float_round_mode_16_64 0
		.amdhsa_float_denorm_mode_32 3
		.amdhsa_float_denorm_mode_16_64 3
		.amdhsa_dx10_clamp 1
		.amdhsa_ieee_mode 1
		.amdhsa_fp16_overflow 0
		.amdhsa_exception_fp_ieee_invalid_op 0
		.amdhsa_exception_fp_denorm_src 0
		.amdhsa_exception_fp_ieee_div_zero 0
		.amdhsa_exception_fp_ieee_overflow 0
		.amdhsa_exception_fp_ieee_underflow 0
		.amdhsa_exception_fp_ieee_inexact 0
		.amdhsa_exception_int_div_zero 0
	.end_amdhsa_kernel
	.section	.text._Z19threads_copy_kernelIiLi16EEvPKT_PS0_m,"axG",@progbits,_Z19threads_copy_kernelIiLi16EEvPKT_PS0_m,comdat
.Lfunc_end4:
	.size	_Z19threads_copy_kernelIiLi16EEvPKT_PS0_m, .Lfunc_end4-_Z19threads_copy_kernelIiLi16EEvPKT_PS0_m
                                        ; -- End function
	.set _Z19threads_copy_kernelIiLi16EEvPKT_PS0_m.num_vgpr, 17
	.set _Z19threads_copy_kernelIiLi16EEvPKT_PS0_m.num_agpr, 0
	.set _Z19threads_copy_kernelIiLi16EEvPKT_PS0_m.numbered_sgpr, 10
	.set _Z19threads_copy_kernelIiLi16EEvPKT_PS0_m.num_named_barrier, 0
	.set _Z19threads_copy_kernelIiLi16EEvPKT_PS0_m.private_seg_size, 0
	.set _Z19threads_copy_kernelIiLi16EEvPKT_PS0_m.uses_vcc, 1
	.set _Z19threads_copy_kernelIiLi16EEvPKT_PS0_m.uses_flat_scratch, 0
	.set _Z19threads_copy_kernelIiLi16EEvPKT_PS0_m.has_dyn_sized_stack, 0
	.set _Z19threads_copy_kernelIiLi16EEvPKT_PS0_m.has_recursion, 0
	.set _Z19threads_copy_kernelIiLi16EEvPKT_PS0_m.has_indirect_call, 0
	.section	.AMDGPU.csdata,"",@progbits
; Kernel info:
; codeLenInByte = 356
; TotalNumSgprs: 14
; NumVgprs: 17
; ScratchSize: 0
; MemoryBound: 0
; FloatMode: 240
; IeeeMode: 1
; LDSByteSize: 0 bytes/workgroup (compile time only)
; SGPRBlocks: 1
; VGPRBlocks: 4
; NumSGPRsForWavesPerEU: 14
; NumVGPRsForWavesPerEU: 17
; Occupancy: 10
; WaveLimiterHint : 0
; COMPUTE_PGM_RSRC2:SCRATCH_EN: 0
; COMPUTE_PGM_RSRC2:USER_SGPR: 6
; COMPUTE_PGM_RSRC2:TRAP_HANDLER: 0
; COMPUTE_PGM_RSRC2:TGID_X_EN: 1
; COMPUTE_PGM_RSRC2:TGID_Y_EN: 0
; COMPUTE_PGM_RSRC2:TGID_Z_EN: 0
; COMPUTE_PGM_RSRC2:TIDIG_COMP_CNT: 0
	.section	.text._Z19threads_copy_kernelIsLi1EEvPKT_PS0_m,"axG",@progbits,_Z19threads_copy_kernelIsLi1EEvPKT_PS0_m,comdat
	.protected	_Z19threads_copy_kernelIsLi1EEvPKT_PS0_m ; -- Begin function _Z19threads_copy_kernelIsLi1EEvPKT_PS0_m
	.globl	_Z19threads_copy_kernelIsLi1EEvPKT_PS0_m
	.p2align	8
	.type	_Z19threads_copy_kernelIsLi1EEvPKT_PS0_m,@function
_Z19threads_copy_kernelIsLi1EEvPKT_PS0_m: ; @_Z19threads_copy_kernelIsLi1EEvPKT_PS0_m
; %bb.0:
	s_load_dword s2, s[4:5], 0x24
	s_load_dwordx2 s[0:1], s[4:5], 0x10
	v_mov_b32_e32 v1, 0
	v_mov_b32_e32 v2, s6
	s_waitcnt lgkmcnt(0)
	s_and_b32 s2, s2, 0xffff
	v_mad_u64_u32 v[0:1], s[2:3], s2, v2, v[0:1]
	v_cmp_ne_u64_e32 vcc, s[0:1], v[0:1]
	s_and_saveexec_b64 s[0:1], vcc
	s_cbranch_execz .LBB5_2
; %bb.1:
	s_load_dwordx4 s[0:3], s[4:5], 0x0
	v_lshlrev_b64 v[0:1], 1, v[0:1]
	s_waitcnt lgkmcnt(0)
	v_mov_b32_e32 v3, s1
	v_add_co_u32_e32 v2, vcc, s0, v0
	v_addc_co_u32_e32 v3, vcc, v3, v1, vcc
	global_load_ushort v2, v[2:3], off
	v_mov_b32_e32 v3, s3
	v_add_co_u32_e32 v0, vcc, s2, v0
	v_addc_co_u32_e32 v1, vcc, v3, v1, vcc
	s_waitcnt vmcnt(0)
	global_store_short v[0:1], v2, off
.LBB5_2:
	s_endpgm
	.section	.rodata,"a",@progbits
	.p2align	6, 0x0
	.amdhsa_kernel _Z19threads_copy_kernelIsLi1EEvPKT_PS0_m
		.amdhsa_group_segment_fixed_size 0
		.amdhsa_private_segment_fixed_size 0
		.amdhsa_kernarg_size 280
		.amdhsa_user_sgpr_count 6
		.amdhsa_user_sgpr_private_segment_buffer 1
		.amdhsa_user_sgpr_dispatch_ptr 0
		.amdhsa_user_sgpr_queue_ptr 0
		.amdhsa_user_sgpr_kernarg_segment_ptr 1
		.amdhsa_user_sgpr_dispatch_id 0
		.amdhsa_user_sgpr_flat_scratch_init 0
		.amdhsa_user_sgpr_private_segment_size 0
		.amdhsa_uses_dynamic_stack 0
		.amdhsa_system_sgpr_private_segment_wavefront_offset 0
		.amdhsa_system_sgpr_workgroup_id_x 1
		.amdhsa_system_sgpr_workgroup_id_y 0
		.amdhsa_system_sgpr_workgroup_id_z 0
		.amdhsa_system_sgpr_workgroup_info 0
		.amdhsa_system_vgpr_workitem_id 0
		.amdhsa_next_free_vgpr 4
		.amdhsa_next_free_sgpr 7
		.amdhsa_reserve_vcc 1
		.amdhsa_reserve_flat_scratch 0
		.amdhsa_float_round_mode_32 0
		.amdhsa_float_round_mode_16_64 0
		.amdhsa_float_denorm_mode_32 3
		.amdhsa_float_denorm_mode_16_64 3
		.amdhsa_dx10_clamp 1
		.amdhsa_ieee_mode 1
		.amdhsa_fp16_overflow 0
		.amdhsa_exception_fp_ieee_invalid_op 0
		.amdhsa_exception_fp_denorm_src 0
		.amdhsa_exception_fp_ieee_div_zero 0
		.amdhsa_exception_fp_ieee_overflow 0
		.amdhsa_exception_fp_ieee_underflow 0
		.amdhsa_exception_fp_ieee_inexact 0
		.amdhsa_exception_int_div_zero 0
	.end_amdhsa_kernel
	.section	.text._Z19threads_copy_kernelIsLi1EEvPKT_PS0_m,"axG",@progbits,_Z19threads_copy_kernelIsLi1EEvPKT_PS0_m,comdat
.Lfunc_end5:
	.size	_Z19threads_copy_kernelIsLi1EEvPKT_PS0_m, .Lfunc_end5-_Z19threads_copy_kernelIsLi1EEvPKT_PS0_m
                                        ; -- End function
	.set _Z19threads_copy_kernelIsLi1EEvPKT_PS0_m.num_vgpr, 4
	.set _Z19threads_copy_kernelIsLi1EEvPKT_PS0_m.num_agpr, 0
	.set _Z19threads_copy_kernelIsLi1EEvPKT_PS0_m.numbered_sgpr, 7
	.set _Z19threads_copy_kernelIsLi1EEvPKT_PS0_m.num_named_barrier, 0
	.set _Z19threads_copy_kernelIsLi1EEvPKT_PS0_m.private_seg_size, 0
	.set _Z19threads_copy_kernelIsLi1EEvPKT_PS0_m.uses_vcc, 1
	.set _Z19threads_copy_kernelIsLi1EEvPKT_PS0_m.uses_flat_scratch, 0
	.set _Z19threads_copy_kernelIsLi1EEvPKT_PS0_m.has_dyn_sized_stack, 0
	.set _Z19threads_copy_kernelIsLi1EEvPKT_PS0_m.has_recursion, 0
	.set _Z19threads_copy_kernelIsLi1EEvPKT_PS0_m.has_indirect_call, 0
	.section	.AMDGPU.csdata,"",@progbits
; Kernel info:
; codeLenInByte = 124
; TotalNumSgprs: 11
; NumVgprs: 4
; ScratchSize: 0
; MemoryBound: 0
; FloatMode: 240
; IeeeMode: 1
; LDSByteSize: 0 bytes/workgroup (compile time only)
; SGPRBlocks: 1
; VGPRBlocks: 0
; NumSGPRsForWavesPerEU: 11
; NumVGPRsForWavesPerEU: 4
; Occupancy: 10
; WaveLimiterHint : 0
; COMPUTE_PGM_RSRC2:SCRATCH_EN: 0
; COMPUTE_PGM_RSRC2:USER_SGPR: 6
; COMPUTE_PGM_RSRC2:TRAP_HANDLER: 0
; COMPUTE_PGM_RSRC2:TGID_X_EN: 1
; COMPUTE_PGM_RSRC2:TGID_Y_EN: 0
; COMPUTE_PGM_RSRC2:TGID_Z_EN: 0
; COMPUTE_PGM_RSRC2:TIDIG_COMP_CNT: 0
	.section	.text._Z19threads_copy_kernelIsLi2EEvPKT_PS0_m,"axG",@progbits,_Z19threads_copy_kernelIsLi2EEvPKT_PS0_m,comdat
	.protected	_Z19threads_copy_kernelIsLi2EEvPKT_PS0_m ; -- Begin function _Z19threads_copy_kernelIsLi2EEvPKT_PS0_m
	.globl	_Z19threads_copy_kernelIsLi2EEvPKT_PS0_m
	.p2align	8
	.type	_Z19threads_copy_kernelIsLi2EEvPKT_PS0_m,@function
_Z19threads_copy_kernelIsLi2EEvPKT_PS0_m: ; @_Z19threads_copy_kernelIsLi2EEvPKT_PS0_m
; %bb.0:
	s_load_dword s0, s[4:5], 0x24
	v_mov_b32_e32 v2, 0
	v_lshlrev_b32_e32 v1, 1, v0
	s_waitcnt lgkmcnt(0)
	s_and_b32 s7, s0, 0xffff
	s_lshl_b32 s0, s6, 1
	v_mov_b32_e32 v3, s7
	v_mad_u64_u32 v[1:2], s[0:1], s0, v3, v[1:2]
	s_load_dwordx2 s[8:9], s[4:5], 0x10
	s_load_dwordx4 s[0:3], s[4:5], 0x0
	s_lshr_b32 s4, s6, 31
	s_mul_i32 s4, s4, s7
	v_add_u32_e32 v2, s4, v2
	s_waitcnt lgkmcnt(0)
	v_mov_b32_e32 v4, s9
	v_sub_co_u32_e32 v3, vcc, s8, v1
	v_subb_co_u32_e32 v4, vcc, v4, v2, vcc
	v_cmp_lt_u64_e32 vcc, 1, v[3:4]
	s_and_saveexec_b64 s[4:5], vcc
	s_xor_b64 s[4:5], exec, s[4:5]
	s_cbranch_execz .LBB6_2
; %bb.1:
	v_lshlrev_b64 v[0:1], 1, v[1:2]
	v_mov_b32_e32 v3, s1
	v_add_co_u32_e32 v2, vcc, s0, v0
	v_addc_co_u32_e32 v3, vcc, v3, v1, vcc
	global_load_dword v2, v[2:3], off
	v_mov_b32_e32 v3, s3
	v_add_co_u32_e32 v0, vcc, s2, v0
	v_addc_co_u32_e32 v1, vcc, v3, v1, vcc
	s_waitcnt vmcnt(0)
	global_store_dword v[0:1], v2, off
                                        ; implicit-def: $vgpr1_vgpr2
                                        ; implicit-def: $vgpr0
.LBB6_2:
	s_andn2_saveexec_b64 s[4:5], s[4:5]
	s_cbranch_execz .LBB6_6
; %bb.3:
	v_cmp_gt_u64_e32 vcc, s[8:9], v[1:2]
	s_and_saveexec_b64 s[4:5], vcc
	s_cbranch_execz .LBB6_6
; %bb.4:
	s_mul_hi_u32 s5, s6, s7
	s_mul_i32 s4, s6, s7
	s_lshl_b64 s[4:5], s[4:5], 2
	v_lshlrev_b32_e32 v0, 2, v0
	v_mov_b32_e32 v3, s5
	v_add_co_u32_e32 v0, vcc, s4, v0
	v_addc_co_u32_e32 v6, vcc, 0, v3, vcc
	v_mov_b32_e32 v4, s3
	v_add_co_u32_e32 v3, vcc, s2, v0
	v_addc_co_u32_e32 v4, vcc, v4, v6, vcc
	v_mov_b32_e32 v7, s1
	v_add_co_u32_e32 v5, vcc, s0, v0
	v_addc_co_u32_e32 v6, vcc, v7, v6, vcc
	s_mov_b64 s[0:1], 0
.LBB6_5:                                ; =>This Inner Loop Header: Depth=1
	global_load_ushort v0, v[5:6], off
	v_add_co_u32_e32 v1, vcc, 1, v1
	v_addc_co_u32_e32 v2, vcc, 0, v2, vcc
	v_add_co_u32_e32 v5, vcc, 2, v5
	v_addc_co_u32_e32 v6, vcc, 0, v6, vcc
	v_cmp_le_u64_e32 vcc, s[8:9], v[1:2]
	s_or_b64 s[0:1], vcc, s[0:1]
	s_waitcnt vmcnt(0)
	global_store_short v[3:4], v0, off
	v_add_co_u32_e32 v3, vcc, 2, v3
	v_addc_co_u32_e32 v4, vcc, 0, v4, vcc
	s_andn2_b64 exec, exec, s[0:1]
	s_cbranch_execnz .LBB6_5
.LBB6_6:
	s_endpgm
	.section	.rodata,"a",@progbits
	.p2align	6, 0x0
	.amdhsa_kernel _Z19threads_copy_kernelIsLi2EEvPKT_PS0_m
		.amdhsa_group_segment_fixed_size 0
		.amdhsa_private_segment_fixed_size 0
		.amdhsa_kernarg_size 280
		.amdhsa_user_sgpr_count 6
		.amdhsa_user_sgpr_private_segment_buffer 1
		.amdhsa_user_sgpr_dispatch_ptr 0
		.amdhsa_user_sgpr_queue_ptr 0
		.amdhsa_user_sgpr_kernarg_segment_ptr 1
		.amdhsa_user_sgpr_dispatch_id 0
		.amdhsa_user_sgpr_flat_scratch_init 0
		.amdhsa_user_sgpr_private_segment_size 0
		.amdhsa_uses_dynamic_stack 0
		.amdhsa_system_sgpr_private_segment_wavefront_offset 0
		.amdhsa_system_sgpr_workgroup_id_x 1
		.amdhsa_system_sgpr_workgroup_id_y 0
		.amdhsa_system_sgpr_workgroup_id_z 0
		.amdhsa_system_sgpr_workgroup_info 0
		.amdhsa_system_vgpr_workitem_id 0
		.amdhsa_next_free_vgpr 8
		.amdhsa_next_free_sgpr 10
		.amdhsa_reserve_vcc 1
		.amdhsa_reserve_flat_scratch 0
		.amdhsa_float_round_mode_32 0
		.amdhsa_float_round_mode_16_64 0
		.amdhsa_float_denorm_mode_32 3
		.amdhsa_float_denorm_mode_16_64 3
		.amdhsa_dx10_clamp 1
		.amdhsa_ieee_mode 1
		.amdhsa_fp16_overflow 0
		.amdhsa_exception_fp_ieee_invalid_op 0
		.amdhsa_exception_fp_denorm_src 0
		.amdhsa_exception_fp_ieee_div_zero 0
		.amdhsa_exception_fp_ieee_overflow 0
		.amdhsa_exception_fp_ieee_underflow 0
		.amdhsa_exception_fp_ieee_inexact 0
		.amdhsa_exception_int_div_zero 0
	.end_amdhsa_kernel
	.section	.text._Z19threads_copy_kernelIsLi2EEvPKT_PS0_m,"axG",@progbits,_Z19threads_copy_kernelIsLi2EEvPKT_PS0_m,comdat
.Lfunc_end6:
	.size	_Z19threads_copy_kernelIsLi2EEvPKT_PS0_m, .Lfunc_end6-_Z19threads_copy_kernelIsLi2EEvPKT_PS0_m
                                        ; -- End function
	.set _Z19threads_copy_kernelIsLi2EEvPKT_PS0_m.num_vgpr, 8
	.set _Z19threads_copy_kernelIsLi2EEvPKT_PS0_m.num_agpr, 0
	.set _Z19threads_copy_kernelIsLi2EEvPKT_PS0_m.numbered_sgpr, 10
	.set _Z19threads_copy_kernelIsLi2EEvPKT_PS0_m.num_named_barrier, 0
	.set _Z19threads_copy_kernelIsLi2EEvPKT_PS0_m.private_seg_size, 0
	.set _Z19threads_copy_kernelIsLi2EEvPKT_PS0_m.uses_vcc, 1
	.set _Z19threads_copy_kernelIsLi2EEvPKT_PS0_m.uses_flat_scratch, 0
	.set _Z19threads_copy_kernelIsLi2EEvPKT_PS0_m.has_dyn_sized_stack, 0
	.set _Z19threads_copy_kernelIsLi2EEvPKT_PS0_m.has_recursion, 0
	.set _Z19threads_copy_kernelIsLi2EEvPKT_PS0_m.has_indirect_call, 0
	.section	.AMDGPU.csdata,"",@progbits
; Kernel info:
; codeLenInByte = 296
; TotalNumSgprs: 14
; NumVgprs: 8
; ScratchSize: 0
; MemoryBound: 0
; FloatMode: 240
; IeeeMode: 1
; LDSByteSize: 0 bytes/workgroup (compile time only)
; SGPRBlocks: 1
; VGPRBlocks: 1
; NumSGPRsForWavesPerEU: 14
; NumVGPRsForWavesPerEU: 8
; Occupancy: 10
; WaveLimiterHint : 0
; COMPUTE_PGM_RSRC2:SCRATCH_EN: 0
; COMPUTE_PGM_RSRC2:USER_SGPR: 6
; COMPUTE_PGM_RSRC2:TRAP_HANDLER: 0
; COMPUTE_PGM_RSRC2:TGID_X_EN: 1
; COMPUTE_PGM_RSRC2:TGID_Y_EN: 0
; COMPUTE_PGM_RSRC2:TGID_Z_EN: 0
; COMPUTE_PGM_RSRC2:TIDIG_COMP_CNT: 0
	.section	.text._Z19threads_copy_kernelIsLi4EEvPKT_PS0_m,"axG",@progbits,_Z19threads_copy_kernelIsLi4EEvPKT_PS0_m,comdat
	.protected	_Z19threads_copy_kernelIsLi4EEvPKT_PS0_m ; -- Begin function _Z19threads_copy_kernelIsLi4EEvPKT_PS0_m
	.globl	_Z19threads_copy_kernelIsLi4EEvPKT_PS0_m
	.p2align	8
	.type	_Z19threads_copy_kernelIsLi4EEvPKT_PS0_m,@function
_Z19threads_copy_kernelIsLi4EEvPKT_PS0_m: ; @_Z19threads_copy_kernelIsLi4EEvPKT_PS0_m
; %bb.0:
	s_load_dword s0, s[4:5], 0x24
	v_mov_b32_e32 v2, 0
	v_lshlrev_b32_e32 v1, 2, v0
	s_waitcnt lgkmcnt(0)
	s_and_b32 s7, s0, 0xffff
	s_lshl_b32 s0, s6, 2
	v_mov_b32_e32 v3, s7
	v_mad_u64_u32 v[1:2], s[0:1], s0, v3, v[1:2]
	s_load_dwordx2 s[8:9], s[4:5], 0x10
	s_load_dwordx4 s[0:3], s[4:5], 0x0
	s_lshr_b32 s4, s6, 30
	s_mul_i32 s4, s4, s7
	v_add_u32_e32 v2, s4, v2
	s_waitcnt lgkmcnt(0)
	v_mov_b32_e32 v4, s9
	v_sub_co_u32_e32 v3, vcc, s8, v1
	v_subb_co_u32_e32 v4, vcc, v4, v2, vcc
	v_cmp_lt_u64_e32 vcc, 3, v[3:4]
	s_and_saveexec_b64 s[4:5], vcc
	s_xor_b64 s[4:5], exec, s[4:5]
	s_cbranch_execz .LBB7_2
; %bb.1:
	v_lshlrev_b64 v[0:1], 1, v[1:2]
	v_mov_b32_e32 v3, s1
	v_add_co_u32_e32 v2, vcc, s0, v0
	v_addc_co_u32_e32 v3, vcc, v3, v1, vcc
	global_load_dwordx2 v[2:3], v[2:3], off
	v_mov_b32_e32 v4, s3
	v_add_co_u32_e32 v0, vcc, s2, v0
	v_addc_co_u32_e32 v1, vcc, v4, v1, vcc
	s_waitcnt vmcnt(0)
	global_store_dwordx2 v[0:1], v[2:3], off
                                        ; implicit-def: $vgpr1_vgpr2
                                        ; implicit-def: $vgpr0
.LBB7_2:
	s_andn2_saveexec_b64 s[4:5], s[4:5]
	s_cbranch_execz .LBB7_6
; %bb.3:
	v_cmp_gt_u64_e32 vcc, s[8:9], v[1:2]
	s_and_saveexec_b64 s[4:5], vcc
	s_cbranch_execz .LBB7_6
; %bb.4:
	s_mul_hi_u32 s5, s6, s7
	s_mul_i32 s4, s6, s7
	s_lshl_b64 s[4:5], s[4:5], 3
	v_lshlrev_b32_e32 v0, 3, v0
	v_mov_b32_e32 v3, s5
	v_add_co_u32_e32 v0, vcc, s4, v0
	v_addc_co_u32_e32 v6, vcc, 0, v3, vcc
	v_mov_b32_e32 v4, s3
	v_add_co_u32_e32 v3, vcc, s2, v0
	v_addc_co_u32_e32 v4, vcc, v4, v6, vcc
	;; [unrolled: 3-line block ×3, first 2 shown]
	s_mov_b64 s[0:1], 0
.LBB7_5:                                ; =>This Inner Loop Header: Depth=1
	global_load_ushort v0, v[5:6], off
	v_add_co_u32_e32 v1, vcc, 1, v1
	v_addc_co_u32_e32 v2, vcc, 0, v2, vcc
	v_add_co_u32_e32 v5, vcc, 2, v5
	v_addc_co_u32_e32 v6, vcc, 0, v6, vcc
	v_cmp_le_u64_e32 vcc, s[8:9], v[1:2]
	s_or_b64 s[0:1], vcc, s[0:1]
	s_waitcnt vmcnt(0)
	global_store_short v[3:4], v0, off
	v_add_co_u32_e32 v3, vcc, 2, v3
	v_addc_co_u32_e32 v4, vcc, 0, v4, vcc
	s_andn2_b64 exec, exec, s[0:1]
	s_cbranch_execnz .LBB7_5
.LBB7_6:
	s_endpgm
	.section	.rodata,"a",@progbits
	.p2align	6, 0x0
	.amdhsa_kernel _Z19threads_copy_kernelIsLi4EEvPKT_PS0_m
		.amdhsa_group_segment_fixed_size 0
		.amdhsa_private_segment_fixed_size 0
		.amdhsa_kernarg_size 280
		.amdhsa_user_sgpr_count 6
		.amdhsa_user_sgpr_private_segment_buffer 1
		.amdhsa_user_sgpr_dispatch_ptr 0
		.amdhsa_user_sgpr_queue_ptr 0
		.amdhsa_user_sgpr_kernarg_segment_ptr 1
		.amdhsa_user_sgpr_dispatch_id 0
		.amdhsa_user_sgpr_flat_scratch_init 0
		.amdhsa_user_sgpr_private_segment_size 0
		.amdhsa_uses_dynamic_stack 0
		.amdhsa_system_sgpr_private_segment_wavefront_offset 0
		.amdhsa_system_sgpr_workgroup_id_x 1
		.amdhsa_system_sgpr_workgroup_id_y 0
		.amdhsa_system_sgpr_workgroup_id_z 0
		.amdhsa_system_sgpr_workgroup_info 0
		.amdhsa_system_vgpr_workitem_id 0
		.amdhsa_next_free_vgpr 8
		.amdhsa_next_free_sgpr 10
		.amdhsa_reserve_vcc 1
		.amdhsa_reserve_flat_scratch 0
		.amdhsa_float_round_mode_32 0
		.amdhsa_float_round_mode_16_64 0
		.amdhsa_float_denorm_mode_32 3
		.amdhsa_float_denorm_mode_16_64 3
		.amdhsa_dx10_clamp 1
		.amdhsa_ieee_mode 1
		.amdhsa_fp16_overflow 0
		.amdhsa_exception_fp_ieee_invalid_op 0
		.amdhsa_exception_fp_denorm_src 0
		.amdhsa_exception_fp_ieee_div_zero 0
		.amdhsa_exception_fp_ieee_overflow 0
		.amdhsa_exception_fp_ieee_underflow 0
		.amdhsa_exception_fp_ieee_inexact 0
		.amdhsa_exception_int_div_zero 0
	.end_amdhsa_kernel
	.section	.text._Z19threads_copy_kernelIsLi4EEvPKT_PS0_m,"axG",@progbits,_Z19threads_copy_kernelIsLi4EEvPKT_PS0_m,comdat
.Lfunc_end7:
	.size	_Z19threads_copy_kernelIsLi4EEvPKT_PS0_m, .Lfunc_end7-_Z19threads_copy_kernelIsLi4EEvPKT_PS0_m
                                        ; -- End function
	.set _Z19threads_copy_kernelIsLi4EEvPKT_PS0_m.num_vgpr, 8
	.set _Z19threads_copy_kernelIsLi4EEvPKT_PS0_m.num_agpr, 0
	.set _Z19threads_copy_kernelIsLi4EEvPKT_PS0_m.numbered_sgpr, 10
	.set _Z19threads_copy_kernelIsLi4EEvPKT_PS0_m.num_named_barrier, 0
	.set _Z19threads_copy_kernelIsLi4EEvPKT_PS0_m.private_seg_size, 0
	.set _Z19threads_copy_kernelIsLi4EEvPKT_PS0_m.uses_vcc, 1
	.set _Z19threads_copy_kernelIsLi4EEvPKT_PS0_m.uses_flat_scratch, 0
	.set _Z19threads_copy_kernelIsLi4EEvPKT_PS0_m.has_dyn_sized_stack, 0
	.set _Z19threads_copy_kernelIsLi4EEvPKT_PS0_m.has_recursion, 0
	.set _Z19threads_copy_kernelIsLi4EEvPKT_PS0_m.has_indirect_call, 0
	.section	.AMDGPU.csdata,"",@progbits
; Kernel info:
; codeLenInByte = 296
; TotalNumSgprs: 14
; NumVgprs: 8
; ScratchSize: 0
; MemoryBound: 0
; FloatMode: 240
; IeeeMode: 1
; LDSByteSize: 0 bytes/workgroup (compile time only)
; SGPRBlocks: 1
; VGPRBlocks: 1
; NumSGPRsForWavesPerEU: 14
; NumVGPRsForWavesPerEU: 8
; Occupancy: 10
; WaveLimiterHint : 0
; COMPUTE_PGM_RSRC2:SCRATCH_EN: 0
; COMPUTE_PGM_RSRC2:USER_SGPR: 6
; COMPUTE_PGM_RSRC2:TRAP_HANDLER: 0
; COMPUTE_PGM_RSRC2:TGID_X_EN: 1
; COMPUTE_PGM_RSRC2:TGID_Y_EN: 0
; COMPUTE_PGM_RSRC2:TGID_Z_EN: 0
; COMPUTE_PGM_RSRC2:TIDIG_COMP_CNT: 0
	.section	.text._Z19threads_copy_kernelIsLi8EEvPKT_PS0_m,"axG",@progbits,_Z19threads_copy_kernelIsLi8EEvPKT_PS0_m,comdat
	.protected	_Z19threads_copy_kernelIsLi8EEvPKT_PS0_m ; -- Begin function _Z19threads_copy_kernelIsLi8EEvPKT_PS0_m
	.globl	_Z19threads_copy_kernelIsLi8EEvPKT_PS0_m
	.p2align	8
	.type	_Z19threads_copy_kernelIsLi8EEvPKT_PS0_m,@function
_Z19threads_copy_kernelIsLi8EEvPKT_PS0_m: ; @_Z19threads_copy_kernelIsLi8EEvPKT_PS0_m
; %bb.0:
	s_load_dword s0, s[4:5], 0x24
	v_mov_b32_e32 v2, 0
	v_lshlrev_b32_e32 v1, 3, v0
	s_waitcnt lgkmcnt(0)
	s_and_b32 s7, s0, 0xffff
	s_lshl_b32 s0, s6, 3
	v_mov_b32_e32 v3, s7
	v_mad_u64_u32 v[1:2], s[0:1], s0, v3, v[1:2]
	s_load_dwordx2 s[8:9], s[4:5], 0x10
	s_load_dwordx4 s[0:3], s[4:5], 0x0
	s_lshr_b32 s4, s6, 29
	s_mul_i32 s4, s4, s7
	v_add_u32_e32 v2, s4, v2
	s_waitcnt lgkmcnt(0)
	v_mov_b32_e32 v4, s9
	v_sub_co_u32_e32 v3, vcc, s8, v1
	v_subb_co_u32_e32 v4, vcc, v4, v2, vcc
	v_cmp_lt_u64_e32 vcc, 7, v[3:4]
	s_and_saveexec_b64 s[4:5], vcc
	s_xor_b64 s[4:5], exec, s[4:5]
	s_cbranch_execz .LBB8_2
; %bb.1:
	v_lshlrev_b64 v[4:5], 1, v[1:2]
	v_mov_b32_e32 v1, s1
	v_add_co_u32_e32 v0, vcc, s0, v4
	v_addc_co_u32_e32 v1, vcc, v1, v5, vcc
	global_load_dwordx4 v[0:3], v[0:1], off
	v_mov_b32_e32 v6, s3
	v_add_co_u32_e32 v4, vcc, s2, v4
	v_addc_co_u32_e32 v5, vcc, v6, v5, vcc
	s_waitcnt vmcnt(0)
	global_store_dwordx4 v[4:5], v[0:3], off
                                        ; implicit-def: $vgpr1_vgpr2
                                        ; implicit-def: $vgpr0
.LBB8_2:
	s_andn2_saveexec_b64 s[4:5], s[4:5]
	s_cbranch_execz .LBB8_6
; %bb.3:
	v_cmp_gt_u64_e32 vcc, s[8:9], v[1:2]
	s_and_saveexec_b64 s[4:5], vcc
	s_cbranch_execz .LBB8_6
; %bb.4:
	s_mul_hi_u32 s5, s6, s7
	s_mul_i32 s4, s6, s7
	s_lshl_b64 s[4:5], s[4:5], 4
	v_lshlrev_b32_e32 v0, 4, v0
	v_mov_b32_e32 v3, s5
	v_add_co_u32_e32 v0, vcc, s4, v0
	v_addc_co_u32_e32 v6, vcc, 0, v3, vcc
	v_mov_b32_e32 v4, s3
	v_add_co_u32_e32 v3, vcc, s2, v0
	v_addc_co_u32_e32 v4, vcc, v4, v6, vcc
	;; [unrolled: 3-line block ×3, first 2 shown]
	s_mov_b64 s[0:1], 0
.LBB8_5:                                ; =>This Inner Loop Header: Depth=1
	global_load_ushort v0, v[5:6], off
	v_add_co_u32_e32 v1, vcc, 1, v1
	v_addc_co_u32_e32 v2, vcc, 0, v2, vcc
	v_add_co_u32_e32 v5, vcc, 2, v5
	v_addc_co_u32_e32 v6, vcc, 0, v6, vcc
	v_cmp_le_u64_e32 vcc, s[8:9], v[1:2]
	s_or_b64 s[0:1], vcc, s[0:1]
	s_waitcnt vmcnt(0)
	global_store_short v[3:4], v0, off
	v_add_co_u32_e32 v3, vcc, 2, v3
	v_addc_co_u32_e32 v4, vcc, 0, v4, vcc
	s_andn2_b64 exec, exec, s[0:1]
	s_cbranch_execnz .LBB8_5
.LBB8_6:
	s_endpgm
	.section	.rodata,"a",@progbits
	.p2align	6, 0x0
	.amdhsa_kernel _Z19threads_copy_kernelIsLi8EEvPKT_PS0_m
		.amdhsa_group_segment_fixed_size 0
		.amdhsa_private_segment_fixed_size 0
		.amdhsa_kernarg_size 280
		.amdhsa_user_sgpr_count 6
		.amdhsa_user_sgpr_private_segment_buffer 1
		.amdhsa_user_sgpr_dispatch_ptr 0
		.amdhsa_user_sgpr_queue_ptr 0
		.amdhsa_user_sgpr_kernarg_segment_ptr 1
		.amdhsa_user_sgpr_dispatch_id 0
		.amdhsa_user_sgpr_flat_scratch_init 0
		.amdhsa_user_sgpr_private_segment_size 0
		.amdhsa_uses_dynamic_stack 0
		.amdhsa_system_sgpr_private_segment_wavefront_offset 0
		.amdhsa_system_sgpr_workgroup_id_x 1
		.amdhsa_system_sgpr_workgroup_id_y 0
		.amdhsa_system_sgpr_workgroup_id_z 0
		.amdhsa_system_sgpr_workgroup_info 0
		.amdhsa_system_vgpr_workitem_id 0
		.amdhsa_next_free_vgpr 8
		.amdhsa_next_free_sgpr 10
		.amdhsa_reserve_vcc 1
		.amdhsa_reserve_flat_scratch 0
		.amdhsa_float_round_mode_32 0
		.amdhsa_float_round_mode_16_64 0
		.amdhsa_float_denorm_mode_32 3
		.amdhsa_float_denorm_mode_16_64 3
		.amdhsa_dx10_clamp 1
		.amdhsa_ieee_mode 1
		.amdhsa_fp16_overflow 0
		.amdhsa_exception_fp_ieee_invalid_op 0
		.amdhsa_exception_fp_denorm_src 0
		.amdhsa_exception_fp_ieee_div_zero 0
		.amdhsa_exception_fp_ieee_overflow 0
		.amdhsa_exception_fp_ieee_underflow 0
		.amdhsa_exception_fp_ieee_inexact 0
		.amdhsa_exception_int_div_zero 0
	.end_amdhsa_kernel
	.section	.text._Z19threads_copy_kernelIsLi8EEvPKT_PS0_m,"axG",@progbits,_Z19threads_copy_kernelIsLi8EEvPKT_PS0_m,comdat
.Lfunc_end8:
	.size	_Z19threads_copy_kernelIsLi8EEvPKT_PS0_m, .Lfunc_end8-_Z19threads_copy_kernelIsLi8EEvPKT_PS0_m
                                        ; -- End function
	.set _Z19threads_copy_kernelIsLi8EEvPKT_PS0_m.num_vgpr, 8
	.set _Z19threads_copy_kernelIsLi8EEvPKT_PS0_m.num_agpr, 0
	.set _Z19threads_copy_kernelIsLi8EEvPKT_PS0_m.numbered_sgpr, 10
	.set _Z19threads_copy_kernelIsLi8EEvPKT_PS0_m.num_named_barrier, 0
	.set _Z19threads_copy_kernelIsLi8EEvPKT_PS0_m.private_seg_size, 0
	.set _Z19threads_copy_kernelIsLi8EEvPKT_PS0_m.uses_vcc, 1
	.set _Z19threads_copy_kernelIsLi8EEvPKT_PS0_m.uses_flat_scratch, 0
	.set _Z19threads_copy_kernelIsLi8EEvPKT_PS0_m.has_dyn_sized_stack, 0
	.set _Z19threads_copy_kernelIsLi8EEvPKT_PS0_m.has_recursion, 0
	.set _Z19threads_copy_kernelIsLi8EEvPKT_PS0_m.has_indirect_call, 0
	.section	.AMDGPU.csdata,"",@progbits
; Kernel info:
; codeLenInByte = 296
; TotalNumSgprs: 14
; NumVgprs: 8
; ScratchSize: 0
; MemoryBound: 0
; FloatMode: 240
; IeeeMode: 1
; LDSByteSize: 0 bytes/workgroup (compile time only)
; SGPRBlocks: 1
; VGPRBlocks: 1
; NumSGPRsForWavesPerEU: 14
; NumVGPRsForWavesPerEU: 8
; Occupancy: 10
; WaveLimiterHint : 0
; COMPUTE_PGM_RSRC2:SCRATCH_EN: 0
; COMPUTE_PGM_RSRC2:USER_SGPR: 6
; COMPUTE_PGM_RSRC2:TRAP_HANDLER: 0
; COMPUTE_PGM_RSRC2:TGID_X_EN: 1
; COMPUTE_PGM_RSRC2:TGID_Y_EN: 0
; COMPUTE_PGM_RSRC2:TGID_Z_EN: 0
; COMPUTE_PGM_RSRC2:TIDIG_COMP_CNT: 0
	.section	.text._Z19threads_copy_kernelIsLi16EEvPKT_PS0_m,"axG",@progbits,_Z19threads_copy_kernelIsLi16EEvPKT_PS0_m,comdat
	.protected	_Z19threads_copy_kernelIsLi16EEvPKT_PS0_m ; -- Begin function _Z19threads_copy_kernelIsLi16EEvPKT_PS0_m
	.globl	_Z19threads_copy_kernelIsLi16EEvPKT_PS0_m
	.p2align	8
	.type	_Z19threads_copy_kernelIsLi16EEvPKT_PS0_m,@function
_Z19threads_copy_kernelIsLi16EEvPKT_PS0_m: ; @_Z19threads_copy_kernelIsLi16EEvPKT_PS0_m
; %bb.0:
	s_load_dword s0, s[4:5], 0x24
	v_mov_b32_e32 v2, 0
	v_lshlrev_b32_e32 v1, 4, v0
	s_waitcnt lgkmcnt(0)
	s_and_b32 s7, s0, 0xffff
	s_lshl_b32 s0, s6, 4
	v_mov_b32_e32 v3, s7
	v_mad_u64_u32 v[1:2], s[0:1], s0, v3, v[1:2]
	s_load_dwordx2 s[8:9], s[4:5], 0x10
	s_load_dwordx4 s[0:3], s[4:5], 0x0
	s_lshr_b32 s4, s6, 28
	s_mul_i32 s4, s4, s7
	v_add_u32_e32 v2, s4, v2
	s_waitcnt lgkmcnt(0)
	v_mov_b32_e32 v4, s9
	v_sub_co_u32_e32 v3, vcc, s8, v1
	v_subb_co_u32_e32 v4, vcc, v4, v2, vcc
	v_cmp_lt_u64_e32 vcc, 15, v[3:4]
	s_and_saveexec_b64 s[4:5], vcc
	s_xor_b64 s[4:5], exec, s[4:5]
	s_cbranch_execz .LBB9_2
; %bb.1:
	v_lshlrev_b64 v[4:5], 1, v[1:2]
	v_mov_b32_e32 v0, s1
	v_add_co_u32_e32 v6, vcc, s0, v4
	v_addc_co_u32_e32 v7, vcc, v0, v5, vcc
	global_load_dwordx4 v[0:3], v[6:7], off offset:16
	v_mov_b32_e32 v8, s3
	v_add_co_u32_e32 v4, vcc, s2, v4
	v_addc_co_u32_e32 v5, vcc, v8, v5, vcc
	s_waitcnt vmcnt(0)
	global_store_dwordx4 v[4:5], v[0:3], off offset:16
	global_load_dwordx4 v[0:3], v[6:7], off
	s_waitcnt vmcnt(0)
	global_store_dwordx4 v[4:5], v[0:3], off
                                        ; implicit-def: $vgpr1_vgpr2
                                        ; implicit-def: $vgpr0
.LBB9_2:
	s_andn2_saveexec_b64 s[4:5], s[4:5]
	s_cbranch_execz .LBB9_6
; %bb.3:
	v_cmp_gt_u64_e32 vcc, s[8:9], v[1:2]
	s_and_saveexec_b64 s[4:5], vcc
	s_cbranch_execz .LBB9_6
; %bb.4:
	s_mul_hi_u32 s5, s6, s7
	s_mul_i32 s4, s6, s7
	s_lshl_b64 s[4:5], s[4:5], 5
	v_lshlrev_b32_e32 v0, 5, v0
	v_mov_b32_e32 v3, s5
	v_add_co_u32_e32 v0, vcc, s4, v0
	v_addc_co_u32_e32 v6, vcc, 0, v3, vcc
	v_mov_b32_e32 v4, s3
	v_add_co_u32_e32 v3, vcc, s2, v0
	v_addc_co_u32_e32 v4, vcc, v4, v6, vcc
	;; [unrolled: 3-line block ×3, first 2 shown]
	s_mov_b64 s[0:1], 0
.LBB9_5:                                ; =>This Inner Loop Header: Depth=1
	global_load_ushort v0, v[5:6], off
	v_add_co_u32_e32 v1, vcc, 1, v1
	v_addc_co_u32_e32 v2, vcc, 0, v2, vcc
	v_add_co_u32_e32 v5, vcc, 2, v5
	v_addc_co_u32_e32 v6, vcc, 0, v6, vcc
	v_cmp_le_u64_e32 vcc, s[8:9], v[1:2]
	s_or_b64 s[0:1], vcc, s[0:1]
	s_waitcnt vmcnt(0)
	global_store_short v[3:4], v0, off
	v_add_co_u32_e32 v3, vcc, 2, v3
	v_addc_co_u32_e32 v4, vcc, 0, v4, vcc
	s_andn2_b64 exec, exec, s[0:1]
	s_cbranch_execnz .LBB9_5
.LBB9_6:
	s_endpgm
	.section	.rodata,"a",@progbits
	.p2align	6, 0x0
	.amdhsa_kernel _Z19threads_copy_kernelIsLi16EEvPKT_PS0_m
		.amdhsa_group_segment_fixed_size 0
		.amdhsa_private_segment_fixed_size 0
		.amdhsa_kernarg_size 280
		.amdhsa_user_sgpr_count 6
		.amdhsa_user_sgpr_private_segment_buffer 1
		.amdhsa_user_sgpr_dispatch_ptr 0
		.amdhsa_user_sgpr_queue_ptr 0
		.amdhsa_user_sgpr_kernarg_segment_ptr 1
		.amdhsa_user_sgpr_dispatch_id 0
		.amdhsa_user_sgpr_flat_scratch_init 0
		.amdhsa_user_sgpr_private_segment_size 0
		.amdhsa_uses_dynamic_stack 0
		.amdhsa_system_sgpr_private_segment_wavefront_offset 0
		.amdhsa_system_sgpr_workgroup_id_x 1
		.amdhsa_system_sgpr_workgroup_id_y 0
		.amdhsa_system_sgpr_workgroup_id_z 0
		.amdhsa_system_sgpr_workgroup_info 0
		.amdhsa_system_vgpr_workitem_id 0
		.amdhsa_next_free_vgpr 9
		.amdhsa_next_free_sgpr 10
		.amdhsa_reserve_vcc 1
		.amdhsa_reserve_flat_scratch 0
		.amdhsa_float_round_mode_32 0
		.amdhsa_float_round_mode_16_64 0
		.amdhsa_float_denorm_mode_32 3
		.amdhsa_float_denorm_mode_16_64 3
		.amdhsa_dx10_clamp 1
		.amdhsa_ieee_mode 1
		.amdhsa_fp16_overflow 0
		.amdhsa_exception_fp_ieee_invalid_op 0
		.amdhsa_exception_fp_denorm_src 0
		.amdhsa_exception_fp_ieee_div_zero 0
		.amdhsa_exception_fp_ieee_overflow 0
		.amdhsa_exception_fp_ieee_underflow 0
		.amdhsa_exception_fp_ieee_inexact 0
		.amdhsa_exception_int_div_zero 0
	.end_amdhsa_kernel
	.section	.text._Z19threads_copy_kernelIsLi16EEvPKT_PS0_m,"axG",@progbits,_Z19threads_copy_kernelIsLi16EEvPKT_PS0_m,comdat
.Lfunc_end9:
	.size	_Z19threads_copy_kernelIsLi16EEvPKT_PS0_m, .Lfunc_end9-_Z19threads_copy_kernelIsLi16EEvPKT_PS0_m
                                        ; -- End function
	.set _Z19threads_copy_kernelIsLi16EEvPKT_PS0_m.num_vgpr, 9
	.set _Z19threads_copy_kernelIsLi16EEvPKT_PS0_m.num_agpr, 0
	.set _Z19threads_copy_kernelIsLi16EEvPKT_PS0_m.numbered_sgpr, 10
	.set _Z19threads_copy_kernelIsLi16EEvPKT_PS0_m.num_named_barrier, 0
	.set _Z19threads_copy_kernelIsLi16EEvPKT_PS0_m.private_seg_size, 0
	.set _Z19threads_copy_kernelIsLi16EEvPKT_PS0_m.uses_vcc, 1
	.set _Z19threads_copy_kernelIsLi16EEvPKT_PS0_m.uses_flat_scratch, 0
	.set _Z19threads_copy_kernelIsLi16EEvPKT_PS0_m.has_dyn_sized_stack, 0
	.set _Z19threads_copy_kernelIsLi16EEvPKT_PS0_m.has_recursion, 0
	.set _Z19threads_copy_kernelIsLi16EEvPKT_PS0_m.has_indirect_call, 0
	.section	.AMDGPU.csdata,"",@progbits
; Kernel info:
; codeLenInByte = 316
; TotalNumSgprs: 14
; NumVgprs: 9
; ScratchSize: 0
; MemoryBound: 0
; FloatMode: 240
; IeeeMode: 1
; LDSByteSize: 0 bytes/workgroup (compile time only)
; SGPRBlocks: 1
; VGPRBlocks: 2
; NumSGPRsForWavesPerEU: 14
; NumVGPRsForWavesPerEU: 9
; Occupancy: 10
; WaveLimiterHint : 0
; COMPUTE_PGM_RSRC2:SCRATCH_EN: 0
; COMPUTE_PGM_RSRC2:USER_SGPR: 6
; COMPUTE_PGM_RSRC2:TRAP_HANDLER: 0
; COMPUTE_PGM_RSRC2:TGID_X_EN: 1
; COMPUTE_PGM_RSRC2:TGID_Y_EN: 0
; COMPUTE_PGM_RSRC2:TGID_Z_EN: 0
; COMPUTE_PGM_RSRC2:TIDIG_COMP_CNT: 0
	.section	.text._Z19threads_copy_kernelIcLi1EEvPKT_PS0_m,"axG",@progbits,_Z19threads_copy_kernelIcLi1EEvPKT_PS0_m,comdat
	.protected	_Z19threads_copy_kernelIcLi1EEvPKT_PS0_m ; -- Begin function _Z19threads_copy_kernelIcLi1EEvPKT_PS0_m
	.globl	_Z19threads_copy_kernelIcLi1EEvPKT_PS0_m
	.p2align	8
	.type	_Z19threads_copy_kernelIcLi1EEvPKT_PS0_m,@function
_Z19threads_copy_kernelIcLi1EEvPKT_PS0_m: ; @_Z19threads_copy_kernelIcLi1EEvPKT_PS0_m
; %bb.0:
	s_load_dword s2, s[4:5], 0x24
	s_load_dwordx2 s[0:1], s[4:5], 0x10
	v_mov_b32_e32 v1, 0
	v_mov_b32_e32 v2, s6
	s_waitcnt lgkmcnt(0)
	s_and_b32 s2, s2, 0xffff
	v_mad_u64_u32 v[0:1], s[2:3], s2, v2, v[0:1]
	v_cmp_ne_u64_e32 vcc, s[0:1], v[0:1]
	s_and_saveexec_b64 s[0:1], vcc
	s_cbranch_execz .LBB10_2
; %bb.1:
	s_load_dwordx4 s[0:3], s[4:5], 0x0
	s_waitcnt lgkmcnt(0)
	v_mov_b32_e32 v3, s1
	v_add_co_u32_e32 v2, vcc, s0, v0
	v_addc_co_u32_e32 v3, vcc, v3, v1, vcc
	global_load_ubyte v2, v[2:3], off
	v_mov_b32_e32 v3, s3
	v_add_co_u32_e32 v0, vcc, s2, v0
	v_addc_co_u32_e32 v1, vcc, v3, v1, vcc
	s_waitcnt vmcnt(0)
	global_store_byte v[0:1], v2, off
.LBB10_2:
	s_endpgm
	.section	.rodata,"a",@progbits
	.p2align	6, 0x0
	.amdhsa_kernel _Z19threads_copy_kernelIcLi1EEvPKT_PS0_m
		.amdhsa_group_segment_fixed_size 0
		.amdhsa_private_segment_fixed_size 0
		.amdhsa_kernarg_size 280
		.amdhsa_user_sgpr_count 6
		.amdhsa_user_sgpr_private_segment_buffer 1
		.amdhsa_user_sgpr_dispatch_ptr 0
		.amdhsa_user_sgpr_queue_ptr 0
		.amdhsa_user_sgpr_kernarg_segment_ptr 1
		.amdhsa_user_sgpr_dispatch_id 0
		.amdhsa_user_sgpr_flat_scratch_init 0
		.amdhsa_user_sgpr_private_segment_size 0
		.amdhsa_uses_dynamic_stack 0
		.amdhsa_system_sgpr_private_segment_wavefront_offset 0
		.amdhsa_system_sgpr_workgroup_id_x 1
		.amdhsa_system_sgpr_workgroup_id_y 0
		.amdhsa_system_sgpr_workgroup_id_z 0
		.amdhsa_system_sgpr_workgroup_info 0
		.amdhsa_system_vgpr_workitem_id 0
		.amdhsa_next_free_vgpr 4
		.amdhsa_next_free_sgpr 7
		.amdhsa_reserve_vcc 1
		.amdhsa_reserve_flat_scratch 0
		.amdhsa_float_round_mode_32 0
		.amdhsa_float_round_mode_16_64 0
		.amdhsa_float_denorm_mode_32 3
		.amdhsa_float_denorm_mode_16_64 3
		.amdhsa_dx10_clamp 1
		.amdhsa_ieee_mode 1
		.amdhsa_fp16_overflow 0
		.amdhsa_exception_fp_ieee_invalid_op 0
		.amdhsa_exception_fp_denorm_src 0
		.amdhsa_exception_fp_ieee_div_zero 0
		.amdhsa_exception_fp_ieee_overflow 0
		.amdhsa_exception_fp_ieee_underflow 0
		.amdhsa_exception_fp_ieee_inexact 0
		.amdhsa_exception_int_div_zero 0
	.end_amdhsa_kernel
	.section	.text._Z19threads_copy_kernelIcLi1EEvPKT_PS0_m,"axG",@progbits,_Z19threads_copy_kernelIcLi1EEvPKT_PS0_m,comdat
.Lfunc_end10:
	.size	_Z19threads_copy_kernelIcLi1EEvPKT_PS0_m, .Lfunc_end10-_Z19threads_copy_kernelIcLi1EEvPKT_PS0_m
                                        ; -- End function
	.set _Z19threads_copy_kernelIcLi1EEvPKT_PS0_m.num_vgpr, 4
	.set _Z19threads_copy_kernelIcLi1EEvPKT_PS0_m.num_agpr, 0
	.set _Z19threads_copy_kernelIcLi1EEvPKT_PS0_m.numbered_sgpr, 7
	.set _Z19threads_copy_kernelIcLi1EEvPKT_PS0_m.num_named_barrier, 0
	.set _Z19threads_copy_kernelIcLi1EEvPKT_PS0_m.private_seg_size, 0
	.set _Z19threads_copy_kernelIcLi1EEvPKT_PS0_m.uses_vcc, 1
	.set _Z19threads_copy_kernelIcLi1EEvPKT_PS0_m.uses_flat_scratch, 0
	.set _Z19threads_copy_kernelIcLi1EEvPKT_PS0_m.has_dyn_sized_stack, 0
	.set _Z19threads_copy_kernelIcLi1EEvPKT_PS0_m.has_recursion, 0
	.set _Z19threads_copy_kernelIcLi1EEvPKT_PS0_m.has_indirect_call, 0
	.section	.AMDGPU.csdata,"",@progbits
; Kernel info:
; codeLenInByte = 116
; TotalNumSgprs: 11
; NumVgprs: 4
; ScratchSize: 0
; MemoryBound: 0
; FloatMode: 240
; IeeeMode: 1
; LDSByteSize: 0 bytes/workgroup (compile time only)
; SGPRBlocks: 1
; VGPRBlocks: 0
; NumSGPRsForWavesPerEU: 11
; NumVGPRsForWavesPerEU: 4
; Occupancy: 10
; WaveLimiterHint : 0
; COMPUTE_PGM_RSRC2:SCRATCH_EN: 0
; COMPUTE_PGM_RSRC2:USER_SGPR: 6
; COMPUTE_PGM_RSRC2:TRAP_HANDLER: 0
; COMPUTE_PGM_RSRC2:TGID_X_EN: 1
; COMPUTE_PGM_RSRC2:TGID_Y_EN: 0
; COMPUTE_PGM_RSRC2:TGID_Z_EN: 0
; COMPUTE_PGM_RSRC2:TIDIG_COMP_CNT: 0
	.section	.text._Z19threads_copy_kernelIcLi2EEvPKT_PS0_m,"axG",@progbits,_Z19threads_copy_kernelIcLi2EEvPKT_PS0_m,comdat
	.protected	_Z19threads_copy_kernelIcLi2EEvPKT_PS0_m ; -- Begin function _Z19threads_copy_kernelIcLi2EEvPKT_PS0_m
	.globl	_Z19threads_copy_kernelIcLi2EEvPKT_PS0_m
	.p2align	8
	.type	_Z19threads_copy_kernelIcLi2EEvPKT_PS0_m,@function
_Z19threads_copy_kernelIcLi2EEvPKT_PS0_m: ; @_Z19threads_copy_kernelIcLi2EEvPKT_PS0_m
; %bb.0:
	s_load_dword s0, s[4:5], 0x24
	v_mov_b32_e32 v1, 0
	v_lshlrev_b32_e32 v0, 1, v0
	s_waitcnt lgkmcnt(0)
	s_and_b32 s7, s0, 0xffff
	s_lshl_b32 s0, s6, 1
	v_mov_b32_e32 v2, s7
	v_mad_u64_u32 v[0:1], s[0:1], s0, v2, v[0:1]
	s_load_dwordx2 s[8:9], s[4:5], 0x10
	s_load_dwordx4 s[0:3], s[4:5], 0x0
	s_lshr_b32 s4, s6, 31
	s_mul_i32 s4, s4, s7
	v_add_u32_e32 v1, s4, v1
	s_waitcnt lgkmcnt(0)
	v_mov_b32_e32 v3, s9
	v_sub_co_u32_e32 v2, vcc, s8, v0
	v_subb_co_u32_e32 v3, vcc, v3, v1, vcc
	v_cmp_lt_u64_e32 vcc, 1, v[2:3]
	s_and_saveexec_b64 s[4:5], vcc
	s_xor_b64 s[4:5], exec, s[4:5]
	s_cbranch_execz .LBB11_2
; %bb.1:
	v_mov_b32_e32 v3, s1
	v_add_co_u32_e32 v2, vcc, s0, v0
	v_addc_co_u32_e32 v3, vcc, v3, v1, vcc
	global_load_ushort v2, v[2:3], off
	v_mov_b32_e32 v3, s3
	v_add_co_u32_e32 v0, vcc, s2, v0
	v_addc_co_u32_e32 v1, vcc, v3, v1, vcc
	s_waitcnt vmcnt(0)
	global_store_short v[0:1], v2, off
                                        ; implicit-def: $vgpr0_vgpr1
.LBB11_2:
	s_andn2_saveexec_b64 s[4:5], s[4:5]
	s_cbranch_execz .LBB11_6
; %bb.3:
	v_cmp_gt_u64_e32 vcc, s[8:9], v[0:1]
	s_and_saveexec_b64 s[4:5], vcc
	s_cbranch_execz .LBB11_6
; %bb.4:
	s_mov_b64 s[4:5], 0
	v_mov_b32_e32 v2, s1
	v_mov_b32_e32 v3, s3
.LBB11_5:                               ; =>This Inner Loop Header: Depth=1
	v_add_co_u32_e32 v4, vcc, s0, v0
	v_addc_co_u32_e32 v5, vcc, v2, v1, vcc
	global_load_ubyte v6, v[4:5], off
	v_add_co_u32_e32 v4, vcc, s2, v0
	v_addc_co_u32_e32 v5, vcc, v3, v1, vcc
	v_add_co_u32_e32 v0, vcc, 1, v0
	v_addc_co_u32_e32 v1, vcc, 0, v1, vcc
	v_cmp_le_u64_e32 vcc, s[8:9], v[0:1]
	s_or_b64 s[4:5], vcc, s[4:5]
	s_waitcnt vmcnt(0)
	global_store_byte v[4:5], v6, off
	s_andn2_b64 exec, exec, s[4:5]
	s_cbranch_execnz .LBB11_5
.LBB11_6:
	s_endpgm
	.section	.rodata,"a",@progbits
	.p2align	6, 0x0
	.amdhsa_kernel _Z19threads_copy_kernelIcLi2EEvPKT_PS0_m
		.amdhsa_group_segment_fixed_size 0
		.amdhsa_private_segment_fixed_size 0
		.amdhsa_kernarg_size 280
		.amdhsa_user_sgpr_count 6
		.amdhsa_user_sgpr_private_segment_buffer 1
		.amdhsa_user_sgpr_dispatch_ptr 0
		.amdhsa_user_sgpr_queue_ptr 0
		.amdhsa_user_sgpr_kernarg_segment_ptr 1
		.amdhsa_user_sgpr_dispatch_id 0
		.amdhsa_user_sgpr_flat_scratch_init 0
		.amdhsa_user_sgpr_private_segment_size 0
		.amdhsa_uses_dynamic_stack 0
		.amdhsa_system_sgpr_private_segment_wavefront_offset 0
		.amdhsa_system_sgpr_workgroup_id_x 1
		.amdhsa_system_sgpr_workgroup_id_y 0
		.amdhsa_system_sgpr_workgroup_id_z 0
		.amdhsa_system_sgpr_workgroup_info 0
		.amdhsa_system_vgpr_workitem_id 0
		.amdhsa_next_free_vgpr 7
		.amdhsa_next_free_sgpr 10
		.amdhsa_reserve_vcc 1
		.amdhsa_reserve_flat_scratch 0
		.amdhsa_float_round_mode_32 0
		.amdhsa_float_round_mode_16_64 0
		.amdhsa_float_denorm_mode_32 3
		.amdhsa_float_denorm_mode_16_64 3
		.amdhsa_dx10_clamp 1
		.amdhsa_ieee_mode 1
		.amdhsa_fp16_overflow 0
		.amdhsa_exception_fp_ieee_invalid_op 0
		.amdhsa_exception_fp_denorm_src 0
		.amdhsa_exception_fp_ieee_div_zero 0
		.amdhsa_exception_fp_ieee_overflow 0
		.amdhsa_exception_fp_ieee_underflow 0
		.amdhsa_exception_fp_ieee_inexact 0
		.amdhsa_exception_int_div_zero 0
	.end_amdhsa_kernel
	.section	.text._Z19threads_copy_kernelIcLi2EEvPKT_PS0_m,"axG",@progbits,_Z19threads_copy_kernelIcLi2EEvPKT_PS0_m,comdat
.Lfunc_end11:
	.size	_Z19threads_copy_kernelIcLi2EEvPKT_PS0_m, .Lfunc_end11-_Z19threads_copy_kernelIcLi2EEvPKT_PS0_m
                                        ; -- End function
	.set _Z19threads_copy_kernelIcLi2EEvPKT_PS0_m.num_vgpr, 7
	.set _Z19threads_copy_kernelIcLi2EEvPKT_PS0_m.num_agpr, 0
	.set _Z19threads_copy_kernelIcLi2EEvPKT_PS0_m.numbered_sgpr, 10
	.set _Z19threads_copy_kernelIcLi2EEvPKT_PS0_m.num_named_barrier, 0
	.set _Z19threads_copy_kernelIcLi2EEvPKT_PS0_m.private_seg_size, 0
	.set _Z19threads_copy_kernelIcLi2EEvPKT_PS0_m.uses_vcc, 1
	.set _Z19threads_copy_kernelIcLi2EEvPKT_PS0_m.uses_flat_scratch, 0
	.set _Z19threads_copy_kernelIcLi2EEvPKT_PS0_m.has_dyn_sized_stack, 0
	.set _Z19threads_copy_kernelIcLi2EEvPKT_PS0_m.has_recursion, 0
	.set _Z19threads_copy_kernelIcLi2EEvPKT_PS0_m.has_indirect_call, 0
	.section	.AMDGPU.csdata,"",@progbits
; Kernel info:
; codeLenInByte = 244
; TotalNumSgprs: 14
; NumVgprs: 7
; ScratchSize: 0
; MemoryBound: 0
; FloatMode: 240
; IeeeMode: 1
; LDSByteSize: 0 bytes/workgroup (compile time only)
; SGPRBlocks: 1
; VGPRBlocks: 1
; NumSGPRsForWavesPerEU: 14
; NumVGPRsForWavesPerEU: 7
; Occupancy: 10
; WaveLimiterHint : 0
; COMPUTE_PGM_RSRC2:SCRATCH_EN: 0
; COMPUTE_PGM_RSRC2:USER_SGPR: 6
; COMPUTE_PGM_RSRC2:TRAP_HANDLER: 0
; COMPUTE_PGM_RSRC2:TGID_X_EN: 1
; COMPUTE_PGM_RSRC2:TGID_Y_EN: 0
; COMPUTE_PGM_RSRC2:TGID_Z_EN: 0
; COMPUTE_PGM_RSRC2:TIDIG_COMP_CNT: 0
	.section	.text._Z19threads_copy_kernelIcLi4EEvPKT_PS0_m,"axG",@progbits,_Z19threads_copy_kernelIcLi4EEvPKT_PS0_m,comdat
	.protected	_Z19threads_copy_kernelIcLi4EEvPKT_PS0_m ; -- Begin function _Z19threads_copy_kernelIcLi4EEvPKT_PS0_m
	.globl	_Z19threads_copy_kernelIcLi4EEvPKT_PS0_m
	.p2align	8
	.type	_Z19threads_copy_kernelIcLi4EEvPKT_PS0_m,@function
_Z19threads_copy_kernelIcLi4EEvPKT_PS0_m: ; @_Z19threads_copy_kernelIcLi4EEvPKT_PS0_m
; %bb.0:
	s_load_dword s0, s[4:5], 0x24
	v_mov_b32_e32 v1, 0
	v_lshlrev_b32_e32 v0, 2, v0
	s_waitcnt lgkmcnt(0)
	s_and_b32 s7, s0, 0xffff
	s_lshl_b32 s0, s6, 2
	v_mov_b32_e32 v2, s7
	v_mad_u64_u32 v[0:1], s[0:1], s0, v2, v[0:1]
	s_load_dwordx2 s[8:9], s[4:5], 0x10
	s_load_dwordx4 s[0:3], s[4:5], 0x0
	s_lshr_b32 s4, s6, 30
	s_mul_i32 s4, s4, s7
	v_add_u32_e32 v1, s4, v1
	s_waitcnt lgkmcnt(0)
	v_mov_b32_e32 v3, s9
	v_sub_co_u32_e32 v2, vcc, s8, v0
	v_subb_co_u32_e32 v3, vcc, v3, v1, vcc
	v_cmp_lt_u64_e32 vcc, 3, v[2:3]
	s_and_saveexec_b64 s[4:5], vcc
	s_xor_b64 s[4:5], exec, s[4:5]
	s_cbranch_execz .LBB12_2
; %bb.1:
	v_mov_b32_e32 v3, s1
	v_add_co_u32_e32 v2, vcc, s0, v0
	v_addc_co_u32_e32 v3, vcc, v3, v1, vcc
	global_load_dword v2, v[2:3], off
	v_mov_b32_e32 v3, s3
	v_add_co_u32_e32 v0, vcc, s2, v0
	v_addc_co_u32_e32 v1, vcc, v3, v1, vcc
	s_waitcnt vmcnt(0)
	global_store_dword v[0:1], v2, off
                                        ; implicit-def: $vgpr0_vgpr1
.LBB12_2:
	s_andn2_saveexec_b64 s[4:5], s[4:5]
	s_cbranch_execz .LBB12_6
; %bb.3:
	v_cmp_gt_u64_e32 vcc, s[8:9], v[0:1]
	s_and_saveexec_b64 s[4:5], vcc
	s_cbranch_execz .LBB12_6
; %bb.4:
	s_mov_b64 s[4:5], 0
	v_mov_b32_e32 v2, s1
	v_mov_b32_e32 v3, s3
.LBB12_5:                               ; =>This Inner Loop Header: Depth=1
	v_add_co_u32_e32 v4, vcc, s0, v0
	v_addc_co_u32_e32 v5, vcc, v2, v1, vcc
	global_load_ubyte v6, v[4:5], off
	v_add_co_u32_e32 v4, vcc, s2, v0
	v_addc_co_u32_e32 v5, vcc, v3, v1, vcc
	v_add_co_u32_e32 v0, vcc, 1, v0
	v_addc_co_u32_e32 v1, vcc, 0, v1, vcc
	v_cmp_le_u64_e32 vcc, s[8:9], v[0:1]
	s_or_b64 s[4:5], vcc, s[4:5]
	s_waitcnt vmcnt(0)
	global_store_byte v[4:5], v6, off
	s_andn2_b64 exec, exec, s[4:5]
	s_cbranch_execnz .LBB12_5
.LBB12_6:
	s_endpgm
	.section	.rodata,"a",@progbits
	.p2align	6, 0x0
	.amdhsa_kernel _Z19threads_copy_kernelIcLi4EEvPKT_PS0_m
		.amdhsa_group_segment_fixed_size 0
		.amdhsa_private_segment_fixed_size 0
		.amdhsa_kernarg_size 280
		.amdhsa_user_sgpr_count 6
		.amdhsa_user_sgpr_private_segment_buffer 1
		.amdhsa_user_sgpr_dispatch_ptr 0
		.amdhsa_user_sgpr_queue_ptr 0
		.amdhsa_user_sgpr_kernarg_segment_ptr 1
		.amdhsa_user_sgpr_dispatch_id 0
		.amdhsa_user_sgpr_flat_scratch_init 0
		.amdhsa_user_sgpr_private_segment_size 0
		.amdhsa_uses_dynamic_stack 0
		.amdhsa_system_sgpr_private_segment_wavefront_offset 0
		.amdhsa_system_sgpr_workgroup_id_x 1
		.amdhsa_system_sgpr_workgroup_id_y 0
		.amdhsa_system_sgpr_workgroup_id_z 0
		.amdhsa_system_sgpr_workgroup_info 0
		.amdhsa_system_vgpr_workitem_id 0
		.amdhsa_next_free_vgpr 7
		.amdhsa_next_free_sgpr 10
		.amdhsa_reserve_vcc 1
		.amdhsa_reserve_flat_scratch 0
		.amdhsa_float_round_mode_32 0
		.amdhsa_float_round_mode_16_64 0
		.amdhsa_float_denorm_mode_32 3
		.amdhsa_float_denorm_mode_16_64 3
		.amdhsa_dx10_clamp 1
		.amdhsa_ieee_mode 1
		.amdhsa_fp16_overflow 0
		.amdhsa_exception_fp_ieee_invalid_op 0
		.amdhsa_exception_fp_denorm_src 0
		.amdhsa_exception_fp_ieee_div_zero 0
		.amdhsa_exception_fp_ieee_overflow 0
		.amdhsa_exception_fp_ieee_underflow 0
		.amdhsa_exception_fp_ieee_inexact 0
		.amdhsa_exception_int_div_zero 0
	.end_amdhsa_kernel
	.section	.text._Z19threads_copy_kernelIcLi4EEvPKT_PS0_m,"axG",@progbits,_Z19threads_copy_kernelIcLi4EEvPKT_PS0_m,comdat
.Lfunc_end12:
	.size	_Z19threads_copy_kernelIcLi4EEvPKT_PS0_m, .Lfunc_end12-_Z19threads_copy_kernelIcLi4EEvPKT_PS0_m
                                        ; -- End function
	.set _Z19threads_copy_kernelIcLi4EEvPKT_PS0_m.num_vgpr, 7
	.set _Z19threads_copy_kernelIcLi4EEvPKT_PS0_m.num_agpr, 0
	.set _Z19threads_copy_kernelIcLi4EEvPKT_PS0_m.numbered_sgpr, 10
	.set _Z19threads_copy_kernelIcLi4EEvPKT_PS0_m.num_named_barrier, 0
	.set _Z19threads_copy_kernelIcLi4EEvPKT_PS0_m.private_seg_size, 0
	.set _Z19threads_copy_kernelIcLi4EEvPKT_PS0_m.uses_vcc, 1
	.set _Z19threads_copy_kernelIcLi4EEvPKT_PS0_m.uses_flat_scratch, 0
	.set _Z19threads_copy_kernelIcLi4EEvPKT_PS0_m.has_dyn_sized_stack, 0
	.set _Z19threads_copy_kernelIcLi4EEvPKT_PS0_m.has_recursion, 0
	.set _Z19threads_copy_kernelIcLi4EEvPKT_PS0_m.has_indirect_call, 0
	.section	.AMDGPU.csdata,"",@progbits
; Kernel info:
; codeLenInByte = 244
; TotalNumSgprs: 14
; NumVgprs: 7
; ScratchSize: 0
; MemoryBound: 0
; FloatMode: 240
; IeeeMode: 1
; LDSByteSize: 0 bytes/workgroup (compile time only)
; SGPRBlocks: 1
; VGPRBlocks: 1
; NumSGPRsForWavesPerEU: 14
; NumVGPRsForWavesPerEU: 7
; Occupancy: 10
; WaveLimiterHint : 0
; COMPUTE_PGM_RSRC2:SCRATCH_EN: 0
; COMPUTE_PGM_RSRC2:USER_SGPR: 6
; COMPUTE_PGM_RSRC2:TRAP_HANDLER: 0
; COMPUTE_PGM_RSRC2:TGID_X_EN: 1
; COMPUTE_PGM_RSRC2:TGID_Y_EN: 0
; COMPUTE_PGM_RSRC2:TGID_Z_EN: 0
; COMPUTE_PGM_RSRC2:TIDIG_COMP_CNT: 0
	.section	.text._Z19threads_copy_kernelIcLi8EEvPKT_PS0_m,"axG",@progbits,_Z19threads_copy_kernelIcLi8EEvPKT_PS0_m,comdat
	.protected	_Z19threads_copy_kernelIcLi8EEvPKT_PS0_m ; -- Begin function _Z19threads_copy_kernelIcLi8EEvPKT_PS0_m
	.globl	_Z19threads_copy_kernelIcLi8EEvPKT_PS0_m
	.p2align	8
	.type	_Z19threads_copy_kernelIcLi8EEvPKT_PS0_m,@function
_Z19threads_copy_kernelIcLi8EEvPKT_PS0_m: ; @_Z19threads_copy_kernelIcLi8EEvPKT_PS0_m
; %bb.0:
	s_load_dword s0, s[4:5], 0x24
	v_mov_b32_e32 v1, 0
	v_lshlrev_b32_e32 v0, 3, v0
	s_waitcnt lgkmcnt(0)
	s_and_b32 s7, s0, 0xffff
	s_lshl_b32 s0, s6, 3
	v_mov_b32_e32 v2, s7
	v_mad_u64_u32 v[0:1], s[0:1], s0, v2, v[0:1]
	s_load_dwordx2 s[8:9], s[4:5], 0x10
	s_load_dwordx4 s[0:3], s[4:5], 0x0
	s_lshr_b32 s4, s6, 29
	s_mul_i32 s4, s4, s7
	v_add_u32_e32 v1, s4, v1
	s_waitcnt lgkmcnt(0)
	v_mov_b32_e32 v3, s9
	v_sub_co_u32_e32 v2, vcc, s8, v0
	v_subb_co_u32_e32 v3, vcc, v3, v1, vcc
	v_cmp_lt_u64_e32 vcc, 7, v[2:3]
	s_and_saveexec_b64 s[4:5], vcc
	s_xor_b64 s[4:5], exec, s[4:5]
	s_cbranch_execz .LBB13_2
; %bb.1:
	v_mov_b32_e32 v3, s1
	v_add_co_u32_e32 v2, vcc, s0, v0
	v_addc_co_u32_e32 v3, vcc, v3, v1, vcc
	global_load_dwordx2 v[2:3], v[2:3], off
	v_mov_b32_e32 v4, s3
	v_add_co_u32_e32 v0, vcc, s2, v0
	v_addc_co_u32_e32 v1, vcc, v4, v1, vcc
	s_waitcnt vmcnt(0)
	global_store_dwordx2 v[0:1], v[2:3], off
                                        ; implicit-def: $vgpr0_vgpr1
.LBB13_2:
	s_andn2_saveexec_b64 s[4:5], s[4:5]
	s_cbranch_execz .LBB13_6
; %bb.3:
	v_cmp_gt_u64_e32 vcc, s[8:9], v[0:1]
	s_and_saveexec_b64 s[4:5], vcc
	s_cbranch_execz .LBB13_6
; %bb.4:
	s_mov_b64 s[4:5], 0
	v_mov_b32_e32 v2, s1
	v_mov_b32_e32 v3, s3
.LBB13_5:                               ; =>This Inner Loop Header: Depth=1
	v_add_co_u32_e32 v4, vcc, s0, v0
	v_addc_co_u32_e32 v5, vcc, v2, v1, vcc
	global_load_ubyte v6, v[4:5], off
	v_add_co_u32_e32 v4, vcc, s2, v0
	v_addc_co_u32_e32 v5, vcc, v3, v1, vcc
	v_add_co_u32_e32 v0, vcc, 1, v0
	v_addc_co_u32_e32 v1, vcc, 0, v1, vcc
	v_cmp_le_u64_e32 vcc, s[8:9], v[0:1]
	s_or_b64 s[4:5], vcc, s[4:5]
	s_waitcnt vmcnt(0)
	global_store_byte v[4:5], v6, off
	s_andn2_b64 exec, exec, s[4:5]
	s_cbranch_execnz .LBB13_5
.LBB13_6:
	s_endpgm
	.section	.rodata,"a",@progbits
	.p2align	6, 0x0
	.amdhsa_kernel _Z19threads_copy_kernelIcLi8EEvPKT_PS0_m
		.amdhsa_group_segment_fixed_size 0
		.amdhsa_private_segment_fixed_size 0
		.amdhsa_kernarg_size 280
		.amdhsa_user_sgpr_count 6
		.amdhsa_user_sgpr_private_segment_buffer 1
		.amdhsa_user_sgpr_dispatch_ptr 0
		.amdhsa_user_sgpr_queue_ptr 0
		.amdhsa_user_sgpr_kernarg_segment_ptr 1
		.amdhsa_user_sgpr_dispatch_id 0
		.amdhsa_user_sgpr_flat_scratch_init 0
		.amdhsa_user_sgpr_private_segment_size 0
		.amdhsa_uses_dynamic_stack 0
		.amdhsa_system_sgpr_private_segment_wavefront_offset 0
		.amdhsa_system_sgpr_workgroup_id_x 1
		.amdhsa_system_sgpr_workgroup_id_y 0
		.amdhsa_system_sgpr_workgroup_id_z 0
		.amdhsa_system_sgpr_workgroup_info 0
		.amdhsa_system_vgpr_workitem_id 0
		.amdhsa_next_free_vgpr 7
		.amdhsa_next_free_sgpr 10
		.amdhsa_reserve_vcc 1
		.amdhsa_reserve_flat_scratch 0
		.amdhsa_float_round_mode_32 0
		.amdhsa_float_round_mode_16_64 0
		.amdhsa_float_denorm_mode_32 3
		.amdhsa_float_denorm_mode_16_64 3
		.amdhsa_dx10_clamp 1
		.amdhsa_ieee_mode 1
		.amdhsa_fp16_overflow 0
		.amdhsa_exception_fp_ieee_invalid_op 0
		.amdhsa_exception_fp_denorm_src 0
		.amdhsa_exception_fp_ieee_div_zero 0
		.amdhsa_exception_fp_ieee_overflow 0
		.amdhsa_exception_fp_ieee_underflow 0
		.amdhsa_exception_fp_ieee_inexact 0
		.amdhsa_exception_int_div_zero 0
	.end_amdhsa_kernel
	.section	.text._Z19threads_copy_kernelIcLi8EEvPKT_PS0_m,"axG",@progbits,_Z19threads_copy_kernelIcLi8EEvPKT_PS0_m,comdat
.Lfunc_end13:
	.size	_Z19threads_copy_kernelIcLi8EEvPKT_PS0_m, .Lfunc_end13-_Z19threads_copy_kernelIcLi8EEvPKT_PS0_m
                                        ; -- End function
	.set _Z19threads_copy_kernelIcLi8EEvPKT_PS0_m.num_vgpr, 7
	.set _Z19threads_copy_kernelIcLi8EEvPKT_PS0_m.num_agpr, 0
	.set _Z19threads_copy_kernelIcLi8EEvPKT_PS0_m.numbered_sgpr, 10
	.set _Z19threads_copy_kernelIcLi8EEvPKT_PS0_m.num_named_barrier, 0
	.set _Z19threads_copy_kernelIcLi8EEvPKT_PS0_m.private_seg_size, 0
	.set _Z19threads_copy_kernelIcLi8EEvPKT_PS0_m.uses_vcc, 1
	.set _Z19threads_copy_kernelIcLi8EEvPKT_PS0_m.uses_flat_scratch, 0
	.set _Z19threads_copy_kernelIcLi8EEvPKT_PS0_m.has_dyn_sized_stack, 0
	.set _Z19threads_copy_kernelIcLi8EEvPKT_PS0_m.has_recursion, 0
	.set _Z19threads_copy_kernelIcLi8EEvPKT_PS0_m.has_indirect_call, 0
	.section	.AMDGPU.csdata,"",@progbits
; Kernel info:
; codeLenInByte = 244
; TotalNumSgprs: 14
; NumVgprs: 7
; ScratchSize: 0
; MemoryBound: 0
; FloatMode: 240
; IeeeMode: 1
; LDSByteSize: 0 bytes/workgroup (compile time only)
; SGPRBlocks: 1
; VGPRBlocks: 1
; NumSGPRsForWavesPerEU: 14
; NumVGPRsForWavesPerEU: 7
; Occupancy: 10
; WaveLimiterHint : 0
; COMPUTE_PGM_RSRC2:SCRATCH_EN: 0
; COMPUTE_PGM_RSRC2:USER_SGPR: 6
; COMPUTE_PGM_RSRC2:TRAP_HANDLER: 0
; COMPUTE_PGM_RSRC2:TGID_X_EN: 1
; COMPUTE_PGM_RSRC2:TGID_Y_EN: 0
; COMPUTE_PGM_RSRC2:TGID_Z_EN: 0
; COMPUTE_PGM_RSRC2:TIDIG_COMP_CNT: 0
	.section	.text._Z19threads_copy_kernelIcLi16EEvPKT_PS0_m,"axG",@progbits,_Z19threads_copy_kernelIcLi16EEvPKT_PS0_m,comdat
	.protected	_Z19threads_copy_kernelIcLi16EEvPKT_PS0_m ; -- Begin function _Z19threads_copy_kernelIcLi16EEvPKT_PS0_m
	.globl	_Z19threads_copy_kernelIcLi16EEvPKT_PS0_m
	.p2align	8
	.type	_Z19threads_copy_kernelIcLi16EEvPKT_PS0_m,@function
_Z19threads_copy_kernelIcLi16EEvPKT_PS0_m: ; @_Z19threads_copy_kernelIcLi16EEvPKT_PS0_m
; %bb.0:
	s_load_dword s0, s[4:5], 0x24
	v_mov_b32_e32 v1, 0
	v_lshlrev_b32_e32 v0, 4, v0
	s_waitcnt lgkmcnt(0)
	s_and_b32 s7, s0, 0xffff
	s_lshl_b32 s0, s6, 4
	v_mov_b32_e32 v2, s7
	v_mad_u64_u32 v[0:1], s[0:1], s0, v2, v[0:1]
	s_load_dwordx2 s[8:9], s[4:5], 0x10
	s_load_dwordx4 s[0:3], s[4:5], 0x0
	s_lshr_b32 s4, s6, 28
	s_mul_i32 s4, s4, s7
	v_add_u32_e32 v1, s4, v1
	s_waitcnt lgkmcnt(0)
	v_mov_b32_e32 v3, s9
	v_sub_co_u32_e32 v2, vcc, s8, v0
	v_subb_co_u32_e32 v3, vcc, v3, v1, vcc
	v_cmp_lt_u64_e32 vcc, 15, v[2:3]
	s_and_saveexec_b64 s[4:5], vcc
	s_xor_b64 s[4:5], exec, s[4:5]
	s_cbranch_execz .LBB14_2
; %bb.1:
	v_mov_b32_e32 v3, s1
	v_add_co_u32_e32 v2, vcc, s0, v0
	v_addc_co_u32_e32 v3, vcc, v3, v1, vcc
	global_load_dwordx4 v[2:5], v[2:3], off
	v_mov_b32_e32 v6, s3
	v_add_co_u32_e32 v0, vcc, s2, v0
	v_addc_co_u32_e32 v1, vcc, v6, v1, vcc
	s_waitcnt vmcnt(0)
	global_store_dwordx4 v[0:1], v[2:5], off
                                        ; implicit-def: $vgpr0_vgpr1
.LBB14_2:
	s_andn2_saveexec_b64 s[4:5], s[4:5]
	s_cbranch_execz .LBB14_6
; %bb.3:
	v_cmp_gt_u64_e32 vcc, s[8:9], v[0:1]
	s_and_saveexec_b64 s[4:5], vcc
	s_cbranch_execz .LBB14_6
; %bb.4:
	s_mov_b64 s[4:5], 0
	v_mov_b32_e32 v2, s1
	v_mov_b32_e32 v3, s3
.LBB14_5:                               ; =>This Inner Loop Header: Depth=1
	v_add_co_u32_e32 v4, vcc, s0, v0
	v_addc_co_u32_e32 v5, vcc, v2, v1, vcc
	global_load_ubyte v6, v[4:5], off
	v_add_co_u32_e32 v4, vcc, s2, v0
	v_addc_co_u32_e32 v5, vcc, v3, v1, vcc
	v_add_co_u32_e32 v0, vcc, 1, v0
	v_addc_co_u32_e32 v1, vcc, 0, v1, vcc
	v_cmp_le_u64_e32 vcc, s[8:9], v[0:1]
	s_or_b64 s[4:5], vcc, s[4:5]
	s_waitcnt vmcnt(0)
	global_store_byte v[4:5], v6, off
	s_andn2_b64 exec, exec, s[4:5]
	s_cbranch_execnz .LBB14_5
.LBB14_6:
	s_endpgm
	.section	.rodata,"a",@progbits
	.p2align	6, 0x0
	.amdhsa_kernel _Z19threads_copy_kernelIcLi16EEvPKT_PS0_m
		.amdhsa_group_segment_fixed_size 0
		.amdhsa_private_segment_fixed_size 0
		.amdhsa_kernarg_size 280
		.amdhsa_user_sgpr_count 6
		.amdhsa_user_sgpr_private_segment_buffer 1
		.amdhsa_user_sgpr_dispatch_ptr 0
		.amdhsa_user_sgpr_queue_ptr 0
		.amdhsa_user_sgpr_kernarg_segment_ptr 1
		.amdhsa_user_sgpr_dispatch_id 0
		.amdhsa_user_sgpr_flat_scratch_init 0
		.amdhsa_user_sgpr_private_segment_size 0
		.amdhsa_uses_dynamic_stack 0
		.amdhsa_system_sgpr_private_segment_wavefront_offset 0
		.amdhsa_system_sgpr_workgroup_id_x 1
		.amdhsa_system_sgpr_workgroup_id_y 0
		.amdhsa_system_sgpr_workgroup_id_z 0
		.amdhsa_system_sgpr_workgroup_info 0
		.amdhsa_system_vgpr_workitem_id 0
		.amdhsa_next_free_vgpr 7
		.amdhsa_next_free_sgpr 10
		.amdhsa_reserve_vcc 1
		.amdhsa_reserve_flat_scratch 0
		.amdhsa_float_round_mode_32 0
		.amdhsa_float_round_mode_16_64 0
		.amdhsa_float_denorm_mode_32 3
		.amdhsa_float_denorm_mode_16_64 3
		.amdhsa_dx10_clamp 1
		.amdhsa_ieee_mode 1
		.amdhsa_fp16_overflow 0
		.amdhsa_exception_fp_ieee_invalid_op 0
		.amdhsa_exception_fp_denorm_src 0
		.amdhsa_exception_fp_ieee_div_zero 0
		.amdhsa_exception_fp_ieee_overflow 0
		.amdhsa_exception_fp_ieee_underflow 0
		.amdhsa_exception_fp_ieee_inexact 0
		.amdhsa_exception_int_div_zero 0
	.end_amdhsa_kernel
	.section	.text._Z19threads_copy_kernelIcLi16EEvPKT_PS0_m,"axG",@progbits,_Z19threads_copy_kernelIcLi16EEvPKT_PS0_m,comdat
.Lfunc_end14:
	.size	_Z19threads_copy_kernelIcLi16EEvPKT_PS0_m, .Lfunc_end14-_Z19threads_copy_kernelIcLi16EEvPKT_PS0_m
                                        ; -- End function
	.set _Z19threads_copy_kernelIcLi16EEvPKT_PS0_m.num_vgpr, 7
	.set _Z19threads_copy_kernelIcLi16EEvPKT_PS0_m.num_agpr, 0
	.set _Z19threads_copy_kernelIcLi16EEvPKT_PS0_m.numbered_sgpr, 10
	.set _Z19threads_copy_kernelIcLi16EEvPKT_PS0_m.num_named_barrier, 0
	.set _Z19threads_copy_kernelIcLi16EEvPKT_PS0_m.private_seg_size, 0
	.set _Z19threads_copy_kernelIcLi16EEvPKT_PS0_m.uses_vcc, 1
	.set _Z19threads_copy_kernelIcLi16EEvPKT_PS0_m.uses_flat_scratch, 0
	.set _Z19threads_copy_kernelIcLi16EEvPKT_PS0_m.has_dyn_sized_stack, 0
	.set _Z19threads_copy_kernelIcLi16EEvPKT_PS0_m.has_recursion, 0
	.set _Z19threads_copy_kernelIcLi16EEvPKT_PS0_m.has_indirect_call, 0
	.section	.AMDGPU.csdata,"",@progbits
; Kernel info:
; codeLenInByte = 244
; TotalNumSgprs: 14
; NumVgprs: 7
; ScratchSize: 0
; MemoryBound: 0
; FloatMode: 240
; IeeeMode: 1
; LDSByteSize: 0 bytes/workgroup (compile time only)
; SGPRBlocks: 1
; VGPRBlocks: 1
; NumSGPRsForWavesPerEU: 14
; NumVGPRsForWavesPerEU: 7
; Occupancy: 10
; WaveLimiterHint : 0
; COMPUTE_PGM_RSRC2:SCRATCH_EN: 0
; COMPUTE_PGM_RSRC2:USER_SGPR: 6
; COMPUTE_PGM_RSRC2:TRAP_HANDLER: 0
; COMPUTE_PGM_RSRC2:TGID_X_EN: 1
; COMPUTE_PGM_RSRC2:TGID_Y_EN: 0
; COMPUTE_PGM_RSRC2:TGID_Z_EN: 0
; COMPUTE_PGM_RSRC2:TIDIG_COMP_CNT: 0
	.section	.AMDGPU.gpr_maximums,"",@progbits
	.set amdgpu.max_num_vgpr, 0
	.set amdgpu.max_num_agpr, 0
	.set amdgpu.max_num_sgpr, 0
	.section	.AMDGPU.csdata,"",@progbits
	.type	__hip_cuid_6f33e5e52ddc199b,@object ; @__hip_cuid_6f33e5e52ddc199b
	.section	.bss,"aw",@nobits
	.globl	__hip_cuid_6f33e5e52ddc199b
__hip_cuid_6f33e5e52ddc199b:
	.byte	0                               ; 0x0
	.size	__hip_cuid_6f33e5e52ddc199b, 1

	.ident	"AMD clang version 22.0.0git (https://github.com/RadeonOpenCompute/llvm-project roc-7.2.4 26084 f58b06dce1f9c15707c5f808fd002e18c2accf7e)"
	.section	".note.GNU-stack","",@progbits
	.addrsig
	.addrsig_sym __hip_cuid_6f33e5e52ddc199b
	.amdgpu_metadata
---
amdhsa.kernels:
  - .args:
      - .address_space:  global
        .offset:         0
        .size:           8
        .value_kind:     global_buffer
      - .address_space:  global
        .offset:         8
        .size:           8
        .value_kind:     global_buffer
      - .offset:         16
        .size:           8
        .value_kind:     by_value
      - .offset:         24
        .size:           4
        .value_kind:     hidden_block_count_x
      - .offset:         28
        .size:           4
        .value_kind:     hidden_block_count_y
      - .offset:         32
        .size:           4
        .value_kind:     hidden_block_count_z
      - .offset:         36
        .size:           2
        .value_kind:     hidden_group_size_x
      - .offset:         38
        .size:           2
        .value_kind:     hidden_group_size_y
      - .offset:         40
        .size:           2
        .value_kind:     hidden_group_size_z
      - .offset:         42
        .size:           2
        .value_kind:     hidden_remainder_x
      - .offset:         44
        .size:           2
        .value_kind:     hidden_remainder_y
      - .offset:         46
        .size:           2
        .value_kind:     hidden_remainder_z
      - .offset:         64
        .size:           8
        .value_kind:     hidden_global_offset_x
      - .offset:         72
        .size:           8
        .value_kind:     hidden_global_offset_y
      - .offset:         80
        .size:           8
        .value_kind:     hidden_global_offset_z
      - .offset:         88
        .size:           2
        .value_kind:     hidden_grid_dims
    .group_segment_fixed_size: 0
    .kernarg_segment_align: 8
    .kernarg_segment_size: 280
    .language:       OpenCL C
    .language_version:
      - 2
      - 0
    .max_flat_workgroup_size: 1024
    .name:           _Z19threads_copy_kernelIiLi1EEvPKT_PS0_m
    .private_segment_fixed_size: 0
    .sgpr_count:     11
    .sgpr_spill_count: 0
    .symbol:         _Z19threads_copy_kernelIiLi1EEvPKT_PS0_m.kd
    .uniform_work_group_size: 1
    .uses_dynamic_stack: false
    .vgpr_count:     4
    .vgpr_spill_count: 0
    .wavefront_size: 64
  - .args:
      - .address_space:  global
        .offset:         0
        .size:           8
        .value_kind:     global_buffer
      - .address_space:  global
        .offset:         8
        .size:           8
        .value_kind:     global_buffer
      - .offset:         16
        .size:           8
        .value_kind:     by_value
      - .offset:         24
        .size:           4
        .value_kind:     hidden_block_count_x
      - .offset:         28
        .size:           4
        .value_kind:     hidden_block_count_y
      - .offset:         32
        .size:           4
        .value_kind:     hidden_block_count_z
      - .offset:         36
        .size:           2
        .value_kind:     hidden_group_size_x
      - .offset:         38
        .size:           2
        .value_kind:     hidden_group_size_y
      - .offset:         40
        .size:           2
        .value_kind:     hidden_group_size_z
      - .offset:         42
        .size:           2
        .value_kind:     hidden_remainder_x
      - .offset:         44
        .size:           2
        .value_kind:     hidden_remainder_y
      - .offset:         46
        .size:           2
        .value_kind:     hidden_remainder_z
      - .offset:         64
        .size:           8
        .value_kind:     hidden_global_offset_x
      - .offset:         72
        .size:           8
        .value_kind:     hidden_global_offset_y
      - .offset:         80
        .size:           8
        .value_kind:     hidden_global_offset_z
      - .offset:         88
        .size:           2
        .value_kind:     hidden_grid_dims
    .group_segment_fixed_size: 0
    .kernarg_segment_align: 8
    .kernarg_segment_size: 280
    .language:       OpenCL C
    .language_version:
      - 2
      - 0
    .max_flat_workgroup_size: 1024
    .name:           _Z19threads_copy_kernelIiLi2EEvPKT_PS0_m
    .private_segment_fixed_size: 0
    .sgpr_count:     14
    .sgpr_spill_count: 0
    .symbol:         _Z19threads_copy_kernelIiLi2EEvPKT_PS0_m.kd
    .uniform_work_group_size: 1
    .uses_dynamic_stack: false
    .vgpr_count:     8
    .vgpr_spill_count: 0
    .wavefront_size: 64
  - .args:
      - .address_space:  global
        .offset:         0
        .size:           8
        .value_kind:     global_buffer
      - .address_space:  global
        .offset:         8
        .size:           8
        .value_kind:     global_buffer
      - .offset:         16
        .size:           8
        .value_kind:     by_value
      - .offset:         24
        .size:           4
        .value_kind:     hidden_block_count_x
      - .offset:         28
        .size:           4
        .value_kind:     hidden_block_count_y
      - .offset:         32
        .size:           4
        .value_kind:     hidden_block_count_z
      - .offset:         36
        .size:           2
        .value_kind:     hidden_group_size_x
      - .offset:         38
        .size:           2
        .value_kind:     hidden_group_size_y
      - .offset:         40
        .size:           2
        .value_kind:     hidden_group_size_z
      - .offset:         42
        .size:           2
        .value_kind:     hidden_remainder_x
      - .offset:         44
        .size:           2
        .value_kind:     hidden_remainder_y
      - .offset:         46
        .size:           2
        .value_kind:     hidden_remainder_z
      - .offset:         64
        .size:           8
        .value_kind:     hidden_global_offset_x
      - .offset:         72
        .size:           8
        .value_kind:     hidden_global_offset_y
      - .offset:         80
        .size:           8
        .value_kind:     hidden_global_offset_z
      - .offset:         88
        .size:           2
        .value_kind:     hidden_grid_dims
    .group_segment_fixed_size: 0
    .kernarg_segment_align: 8
    .kernarg_segment_size: 280
    .language:       OpenCL C
    .language_version:
      - 2
      - 0
    .max_flat_workgroup_size: 1024
    .name:           _Z19threads_copy_kernelIiLi4EEvPKT_PS0_m
    .private_segment_fixed_size: 0
    .sgpr_count:     14
    .sgpr_spill_count: 0
    .symbol:         _Z19threads_copy_kernelIiLi4EEvPKT_PS0_m.kd
    .uniform_work_group_size: 1
    .uses_dynamic_stack: false
    .vgpr_count:     8
    .vgpr_spill_count: 0
    .wavefront_size: 64
  - .args:
      - .address_space:  global
        .offset:         0
        .size:           8
        .value_kind:     global_buffer
      - .address_space:  global
        .offset:         8
        .size:           8
        .value_kind:     global_buffer
      - .offset:         16
        .size:           8
        .value_kind:     by_value
      - .offset:         24
        .size:           4
        .value_kind:     hidden_block_count_x
      - .offset:         28
        .size:           4
        .value_kind:     hidden_block_count_y
      - .offset:         32
        .size:           4
        .value_kind:     hidden_block_count_z
      - .offset:         36
        .size:           2
        .value_kind:     hidden_group_size_x
      - .offset:         38
        .size:           2
        .value_kind:     hidden_group_size_y
      - .offset:         40
        .size:           2
        .value_kind:     hidden_group_size_z
      - .offset:         42
        .size:           2
        .value_kind:     hidden_remainder_x
      - .offset:         44
        .size:           2
        .value_kind:     hidden_remainder_y
      - .offset:         46
        .size:           2
        .value_kind:     hidden_remainder_z
      - .offset:         64
        .size:           8
        .value_kind:     hidden_global_offset_x
      - .offset:         72
        .size:           8
        .value_kind:     hidden_global_offset_y
      - .offset:         80
        .size:           8
        .value_kind:     hidden_global_offset_z
      - .offset:         88
        .size:           2
        .value_kind:     hidden_grid_dims
    .group_segment_fixed_size: 0
    .kernarg_segment_align: 8
    .kernarg_segment_size: 280
    .language:       OpenCL C
    .language_version:
      - 2
      - 0
    .max_flat_workgroup_size: 1024
    .name:           _Z19threads_copy_kernelIiLi8EEvPKT_PS0_m
    .private_segment_fixed_size: 0
    .sgpr_count:     14
    .sgpr_spill_count: 0
    .symbol:         _Z19threads_copy_kernelIiLi8EEvPKT_PS0_m.kd
    .uniform_work_group_size: 1
    .uses_dynamic_stack: false
    .vgpr_count:     9
    .vgpr_spill_count: 0
    .wavefront_size: 64
  - .args:
      - .address_space:  global
        .offset:         0
        .size:           8
        .value_kind:     global_buffer
      - .address_space:  global
        .offset:         8
        .size:           8
        .value_kind:     global_buffer
      - .offset:         16
        .size:           8
        .value_kind:     by_value
      - .offset:         24
        .size:           4
        .value_kind:     hidden_block_count_x
      - .offset:         28
        .size:           4
        .value_kind:     hidden_block_count_y
      - .offset:         32
        .size:           4
        .value_kind:     hidden_block_count_z
      - .offset:         36
        .size:           2
        .value_kind:     hidden_group_size_x
      - .offset:         38
        .size:           2
        .value_kind:     hidden_group_size_y
      - .offset:         40
        .size:           2
        .value_kind:     hidden_group_size_z
      - .offset:         42
        .size:           2
        .value_kind:     hidden_remainder_x
      - .offset:         44
        .size:           2
        .value_kind:     hidden_remainder_y
      - .offset:         46
        .size:           2
        .value_kind:     hidden_remainder_z
      - .offset:         64
        .size:           8
        .value_kind:     hidden_global_offset_x
      - .offset:         72
        .size:           8
        .value_kind:     hidden_global_offset_y
      - .offset:         80
        .size:           8
        .value_kind:     hidden_global_offset_z
      - .offset:         88
        .size:           2
        .value_kind:     hidden_grid_dims
    .group_segment_fixed_size: 0
    .kernarg_segment_align: 8
    .kernarg_segment_size: 280
    .language:       OpenCL C
    .language_version:
      - 2
      - 0
    .max_flat_workgroup_size: 1024
    .name:           _Z19threads_copy_kernelIiLi16EEvPKT_PS0_m
    .private_segment_fixed_size: 0
    .sgpr_count:     14
    .sgpr_spill_count: 0
    .symbol:         _Z19threads_copy_kernelIiLi16EEvPKT_PS0_m.kd
    .uniform_work_group_size: 1
    .uses_dynamic_stack: false
    .vgpr_count:     17
    .vgpr_spill_count: 0
    .wavefront_size: 64
  - .args:
      - .address_space:  global
        .offset:         0
        .size:           8
        .value_kind:     global_buffer
      - .address_space:  global
        .offset:         8
        .size:           8
        .value_kind:     global_buffer
      - .offset:         16
        .size:           8
        .value_kind:     by_value
      - .offset:         24
        .size:           4
        .value_kind:     hidden_block_count_x
      - .offset:         28
        .size:           4
        .value_kind:     hidden_block_count_y
      - .offset:         32
        .size:           4
        .value_kind:     hidden_block_count_z
      - .offset:         36
        .size:           2
        .value_kind:     hidden_group_size_x
      - .offset:         38
        .size:           2
        .value_kind:     hidden_group_size_y
      - .offset:         40
        .size:           2
        .value_kind:     hidden_group_size_z
      - .offset:         42
        .size:           2
        .value_kind:     hidden_remainder_x
      - .offset:         44
        .size:           2
        .value_kind:     hidden_remainder_y
      - .offset:         46
        .size:           2
        .value_kind:     hidden_remainder_z
      - .offset:         64
        .size:           8
        .value_kind:     hidden_global_offset_x
      - .offset:         72
        .size:           8
        .value_kind:     hidden_global_offset_y
      - .offset:         80
        .size:           8
        .value_kind:     hidden_global_offset_z
      - .offset:         88
        .size:           2
        .value_kind:     hidden_grid_dims
    .group_segment_fixed_size: 0
    .kernarg_segment_align: 8
    .kernarg_segment_size: 280
    .language:       OpenCL C
    .language_version:
      - 2
      - 0
    .max_flat_workgroup_size: 1024
    .name:           _Z19threads_copy_kernelIsLi1EEvPKT_PS0_m
    .private_segment_fixed_size: 0
    .sgpr_count:     11
    .sgpr_spill_count: 0
    .symbol:         _Z19threads_copy_kernelIsLi1EEvPKT_PS0_m.kd
    .uniform_work_group_size: 1
    .uses_dynamic_stack: false
    .vgpr_count:     4
    .vgpr_spill_count: 0
    .wavefront_size: 64
  - .args:
      - .address_space:  global
        .offset:         0
        .size:           8
        .value_kind:     global_buffer
      - .address_space:  global
        .offset:         8
        .size:           8
        .value_kind:     global_buffer
      - .offset:         16
        .size:           8
        .value_kind:     by_value
      - .offset:         24
        .size:           4
        .value_kind:     hidden_block_count_x
      - .offset:         28
        .size:           4
        .value_kind:     hidden_block_count_y
      - .offset:         32
        .size:           4
        .value_kind:     hidden_block_count_z
      - .offset:         36
        .size:           2
        .value_kind:     hidden_group_size_x
      - .offset:         38
        .size:           2
        .value_kind:     hidden_group_size_y
      - .offset:         40
        .size:           2
        .value_kind:     hidden_group_size_z
      - .offset:         42
        .size:           2
        .value_kind:     hidden_remainder_x
      - .offset:         44
        .size:           2
        .value_kind:     hidden_remainder_y
      - .offset:         46
        .size:           2
        .value_kind:     hidden_remainder_z
      - .offset:         64
        .size:           8
        .value_kind:     hidden_global_offset_x
      - .offset:         72
        .size:           8
        .value_kind:     hidden_global_offset_y
      - .offset:         80
        .size:           8
        .value_kind:     hidden_global_offset_z
      - .offset:         88
        .size:           2
        .value_kind:     hidden_grid_dims
    .group_segment_fixed_size: 0
    .kernarg_segment_align: 8
    .kernarg_segment_size: 280
    .language:       OpenCL C
    .language_version:
      - 2
      - 0
    .max_flat_workgroup_size: 1024
    .name:           _Z19threads_copy_kernelIsLi2EEvPKT_PS0_m
    .private_segment_fixed_size: 0
    .sgpr_count:     14
    .sgpr_spill_count: 0
    .symbol:         _Z19threads_copy_kernelIsLi2EEvPKT_PS0_m.kd
    .uniform_work_group_size: 1
    .uses_dynamic_stack: false
    .vgpr_count:     8
    .vgpr_spill_count: 0
    .wavefront_size: 64
  - .args:
      - .address_space:  global
        .offset:         0
        .size:           8
        .value_kind:     global_buffer
      - .address_space:  global
        .offset:         8
        .size:           8
        .value_kind:     global_buffer
      - .offset:         16
        .size:           8
        .value_kind:     by_value
      - .offset:         24
        .size:           4
        .value_kind:     hidden_block_count_x
      - .offset:         28
        .size:           4
        .value_kind:     hidden_block_count_y
      - .offset:         32
        .size:           4
        .value_kind:     hidden_block_count_z
      - .offset:         36
        .size:           2
        .value_kind:     hidden_group_size_x
      - .offset:         38
        .size:           2
        .value_kind:     hidden_group_size_y
      - .offset:         40
        .size:           2
        .value_kind:     hidden_group_size_z
      - .offset:         42
        .size:           2
        .value_kind:     hidden_remainder_x
      - .offset:         44
        .size:           2
        .value_kind:     hidden_remainder_y
      - .offset:         46
        .size:           2
        .value_kind:     hidden_remainder_z
      - .offset:         64
        .size:           8
        .value_kind:     hidden_global_offset_x
      - .offset:         72
        .size:           8
        .value_kind:     hidden_global_offset_y
      - .offset:         80
        .size:           8
        .value_kind:     hidden_global_offset_z
      - .offset:         88
        .size:           2
        .value_kind:     hidden_grid_dims
    .group_segment_fixed_size: 0
    .kernarg_segment_align: 8
    .kernarg_segment_size: 280
    .language:       OpenCL C
    .language_version:
      - 2
      - 0
    .max_flat_workgroup_size: 1024
    .name:           _Z19threads_copy_kernelIsLi4EEvPKT_PS0_m
    .private_segment_fixed_size: 0
    .sgpr_count:     14
    .sgpr_spill_count: 0
    .symbol:         _Z19threads_copy_kernelIsLi4EEvPKT_PS0_m.kd
    .uniform_work_group_size: 1
    .uses_dynamic_stack: false
    .vgpr_count:     8
    .vgpr_spill_count: 0
    .wavefront_size: 64
  - .args:
      - .address_space:  global
        .offset:         0
        .size:           8
        .value_kind:     global_buffer
      - .address_space:  global
        .offset:         8
        .size:           8
        .value_kind:     global_buffer
      - .offset:         16
        .size:           8
        .value_kind:     by_value
      - .offset:         24
        .size:           4
        .value_kind:     hidden_block_count_x
      - .offset:         28
        .size:           4
        .value_kind:     hidden_block_count_y
      - .offset:         32
        .size:           4
        .value_kind:     hidden_block_count_z
      - .offset:         36
        .size:           2
        .value_kind:     hidden_group_size_x
      - .offset:         38
        .size:           2
        .value_kind:     hidden_group_size_y
      - .offset:         40
        .size:           2
        .value_kind:     hidden_group_size_z
      - .offset:         42
        .size:           2
        .value_kind:     hidden_remainder_x
      - .offset:         44
        .size:           2
        .value_kind:     hidden_remainder_y
      - .offset:         46
        .size:           2
        .value_kind:     hidden_remainder_z
      - .offset:         64
        .size:           8
        .value_kind:     hidden_global_offset_x
      - .offset:         72
        .size:           8
        .value_kind:     hidden_global_offset_y
      - .offset:         80
        .size:           8
        .value_kind:     hidden_global_offset_z
      - .offset:         88
        .size:           2
        .value_kind:     hidden_grid_dims
    .group_segment_fixed_size: 0
    .kernarg_segment_align: 8
    .kernarg_segment_size: 280
    .language:       OpenCL C
    .language_version:
      - 2
      - 0
    .max_flat_workgroup_size: 1024
    .name:           _Z19threads_copy_kernelIsLi8EEvPKT_PS0_m
    .private_segment_fixed_size: 0
    .sgpr_count:     14
    .sgpr_spill_count: 0
    .symbol:         _Z19threads_copy_kernelIsLi8EEvPKT_PS0_m.kd
    .uniform_work_group_size: 1
    .uses_dynamic_stack: false
    .vgpr_count:     8
    .vgpr_spill_count: 0
    .wavefront_size: 64
  - .args:
      - .address_space:  global
        .offset:         0
        .size:           8
        .value_kind:     global_buffer
      - .address_space:  global
        .offset:         8
        .size:           8
        .value_kind:     global_buffer
      - .offset:         16
        .size:           8
        .value_kind:     by_value
      - .offset:         24
        .size:           4
        .value_kind:     hidden_block_count_x
      - .offset:         28
        .size:           4
        .value_kind:     hidden_block_count_y
      - .offset:         32
        .size:           4
        .value_kind:     hidden_block_count_z
      - .offset:         36
        .size:           2
        .value_kind:     hidden_group_size_x
      - .offset:         38
        .size:           2
        .value_kind:     hidden_group_size_y
      - .offset:         40
        .size:           2
        .value_kind:     hidden_group_size_z
      - .offset:         42
        .size:           2
        .value_kind:     hidden_remainder_x
      - .offset:         44
        .size:           2
        .value_kind:     hidden_remainder_y
      - .offset:         46
        .size:           2
        .value_kind:     hidden_remainder_z
      - .offset:         64
        .size:           8
        .value_kind:     hidden_global_offset_x
      - .offset:         72
        .size:           8
        .value_kind:     hidden_global_offset_y
      - .offset:         80
        .size:           8
        .value_kind:     hidden_global_offset_z
      - .offset:         88
        .size:           2
        .value_kind:     hidden_grid_dims
    .group_segment_fixed_size: 0
    .kernarg_segment_align: 8
    .kernarg_segment_size: 280
    .language:       OpenCL C
    .language_version:
      - 2
      - 0
    .max_flat_workgroup_size: 1024
    .name:           _Z19threads_copy_kernelIsLi16EEvPKT_PS0_m
    .private_segment_fixed_size: 0
    .sgpr_count:     14
    .sgpr_spill_count: 0
    .symbol:         _Z19threads_copy_kernelIsLi16EEvPKT_PS0_m.kd
    .uniform_work_group_size: 1
    .uses_dynamic_stack: false
    .vgpr_count:     9
    .vgpr_spill_count: 0
    .wavefront_size: 64
  - .args:
      - .address_space:  global
        .offset:         0
        .size:           8
        .value_kind:     global_buffer
      - .address_space:  global
        .offset:         8
        .size:           8
        .value_kind:     global_buffer
      - .offset:         16
        .size:           8
        .value_kind:     by_value
      - .offset:         24
        .size:           4
        .value_kind:     hidden_block_count_x
      - .offset:         28
        .size:           4
        .value_kind:     hidden_block_count_y
      - .offset:         32
        .size:           4
        .value_kind:     hidden_block_count_z
      - .offset:         36
        .size:           2
        .value_kind:     hidden_group_size_x
      - .offset:         38
        .size:           2
        .value_kind:     hidden_group_size_y
      - .offset:         40
        .size:           2
        .value_kind:     hidden_group_size_z
      - .offset:         42
        .size:           2
        .value_kind:     hidden_remainder_x
      - .offset:         44
        .size:           2
        .value_kind:     hidden_remainder_y
      - .offset:         46
        .size:           2
        .value_kind:     hidden_remainder_z
      - .offset:         64
        .size:           8
        .value_kind:     hidden_global_offset_x
      - .offset:         72
        .size:           8
        .value_kind:     hidden_global_offset_y
      - .offset:         80
        .size:           8
        .value_kind:     hidden_global_offset_z
      - .offset:         88
        .size:           2
        .value_kind:     hidden_grid_dims
    .group_segment_fixed_size: 0
    .kernarg_segment_align: 8
    .kernarg_segment_size: 280
    .language:       OpenCL C
    .language_version:
      - 2
      - 0
    .max_flat_workgroup_size: 1024
    .name:           _Z19threads_copy_kernelIcLi1EEvPKT_PS0_m
    .private_segment_fixed_size: 0
    .sgpr_count:     11
    .sgpr_spill_count: 0
    .symbol:         _Z19threads_copy_kernelIcLi1EEvPKT_PS0_m.kd
    .uniform_work_group_size: 1
    .uses_dynamic_stack: false
    .vgpr_count:     4
    .vgpr_spill_count: 0
    .wavefront_size: 64
  - .args:
      - .address_space:  global
        .offset:         0
        .size:           8
        .value_kind:     global_buffer
      - .address_space:  global
        .offset:         8
        .size:           8
        .value_kind:     global_buffer
      - .offset:         16
        .size:           8
        .value_kind:     by_value
      - .offset:         24
        .size:           4
        .value_kind:     hidden_block_count_x
      - .offset:         28
        .size:           4
        .value_kind:     hidden_block_count_y
      - .offset:         32
        .size:           4
        .value_kind:     hidden_block_count_z
      - .offset:         36
        .size:           2
        .value_kind:     hidden_group_size_x
      - .offset:         38
        .size:           2
        .value_kind:     hidden_group_size_y
      - .offset:         40
        .size:           2
        .value_kind:     hidden_group_size_z
      - .offset:         42
        .size:           2
        .value_kind:     hidden_remainder_x
      - .offset:         44
        .size:           2
        .value_kind:     hidden_remainder_y
      - .offset:         46
        .size:           2
        .value_kind:     hidden_remainder_z
      - .offset:         64
        .size:           8
        .value_kind:     hidden_global_offset_x
      - .offset:         72
        .size:           8
        .value_kind:     hidden_global_offset_y
      - .offset:         80
        .size:           8
        .value_kind:     hidden_global_offset_z
      - .offset:         88
        .size:           2
        .value_kind:     hidden_grid_dims
    .group_segment_fixed_size: 0
    .kernarg_segment_align: 8
    .kernarg_segment_size: 280
    .language:       OpenCL C
    .language_version:
      - 2
      - 0
    .max_flat_workgroup_size: 1024
    .name:           _Z19threads_copy_kernelIcLi2EEvPKT_PS0_m
    .private_segment_fixed_size: 0
    .sgpr_count:     14
    .sgpr_spill_count: 0
    .symbol:         _Z19threads_copy_kernelIcLi2EEvPKT_PS0_m.kd
    .uniform_work_group_size: 1
    .uses_dynamic_stack: false
    .vgpr_count:     7
    .vgpr_spill_count: 0
    .wavefront_size: 64
  - .args:
      - .address_space:  global
        .offset:         0
        .size:           8
        .value_kind:     global_buffer
      - .address_space:  global
        .offset:         8
        .size:           8
        .value_kind:     global_buffer
      - .offset:         16
        .size:           8
        .value_kind:     by_value
      - .offset:         24
        .size:           4
        .value_kind:     hidden_block_count_x
      - .offset:         28
        .size:           4
        .value_kind:     hidden_block_count_y
      - .offset:         32
        .size:           4
        .value_kind:     hidden_block_count_z
      - .offset:         36
        .size:           2
        .value_kind:     hidden_group_size_x
      - .offset:         38
        .size:           2
        .value_kind:     hidden_group_size_y
      - .offset:         40
        .size:           2
        .value_kind:     hidden_group_size_z
      - .offset:         42
        .size:           2
        .value_kind:     hidden_remainder_x
      - .offset:         44
        .size:           2
        .value_kind:     hidden_remainder_y
      - .offset:         46
        .size:           2
        .value_kind:     hidden_remainder_z
      - .offset:         64
        .size:           8
        .value_kind:     hidden_global_offset_x
      - .offset:         72
        .size:           8
        .value_kind:     hidden_global_offset_y
      - .offset:         80
        .size:           8
        .value_kind:     hidden_global_offset_z
      - .offset:         88
        .size:           2
        .value_kind:     hidden_grid_dims
    .group_segment_fixed_size: 0
    .kernarg_segment_align: 8
    .kernarg_segment_size: 280
    .language:       OpenCL C
    .language_version:
      - 2
      - 0
    .max_flat_workgroup_size: 1024
    .name:           _Z19threads_copy_kernelIcLi4EEvPKT_PS0_m
    .private_segment_fixed_size: 0
    .sgpr_count:     14
    .sgpr_spill_count: 0
    .symbol:         _Z19threads_copy_kernelIcLi4EEvPKT_PS0_m.kd
    .uniform_work_group_size: 1
    .uses_dynamic_stack: false
    .vgpr_count:     7
    .vgpr_spill_count: 0
    .wavefront_size: 64
  - .args:
      - .address_space:  global
        .offset:         0
        .size:           8
        .value_kind:     global_buffer
      - .address_space:  global
        .offset:         8
        .size:           8
        .value_kind:     global_buffer
      - .offset:         16
        .size:           8
        .value_kind:     by_value
      - .offset:         24
        .size:           4
        .value_kind:     hidden_block_count_x
      - .offset:         28
        .size:           4
        .value_kind:     hidden_block_count_y
      - .offset:         32
        .size:           4
        .value_kind:     hidden_block_count_z
      - .offset:         36
        .size:           2
        .value_kind:     hidden_group_size_x
      - .offset:         38
        .size:           2
        .value_kind:     hidden_group_size_y
      - .offset:         40
        .size:           2
        .value_kind:     hidden_group_size_z
      - .offset:         42
        .size:           2
        .value_kind:     hidden_remainder_x
      - .offset:         44
        .size:           2
        .value_kind:     hidden_remainder_y
      - .offset:         46
        .size:           2
        .value_kind:     hidden_remainder_z
      - .offset:         64
        .size:           8
        .value_kind:     hidden_global_offset_x
      - .offset:         72
        .size:           8
        .value_kind:     hidden_global_offset_y
      - .offset:         80
        .size:           8
        .value_kind:     hidden_global_offset_z
      - .offset:         88
        .size:           2
        .value_kind:     hidden_grid_dims
    .group_segment_fixed_size: 0
    .kernarg_segment_align: 8
    .kernarg_segment_size: 280
    .language:       OpenCL C
    .language_version:
      - 2
      - 0
    .max_flat_workgroup_size: 1024
    .name:           _Z19threads_copy_kernelIcLi8EEvPKT_PS0_m
    .private_segment_fixed_size: 0
    .sgpr_count:     14
    .sgpr_spill_count: 0
    .symbol:         _Z19threads_copy_kernelIcLi8EEvPKT_PS0_m.kd
    .uniform_work_group_size: 1
    .uses_dynamic_stack: false
    .vgpr_count:     7
    .vgpr_spill_count: 0
    .wavefront_size: 64
  - .args:
      - .address_space:  global
        .offset:         0
        .size:           8
        .value_kind:     global_buffer
      - .address_space:  global
        .offset:         8
        .size:           8
        .value_kind:     global_buffer
      - .offset:         16
        .size:           8
        .value_kind:     by_value
      - .offset:         24
        .size:           4
        .value_kind:     hidden_block_count_x
      - .offset:         28
        .size:           4
        .value_kind:     hidden_block_count_y
      - .offset:         32
        .size:           4
        .value_kind:     hidden_block_count_z
      - .offset:         36
        .size:           2
        .value_kind:     hidden_group_size_x
      - .offset:         38
        .size:           2
        .value_kind:     hidden_group_size_y
      - .offset:         40
        .size:           2
        .value_kind:     hidden_group_size_z
      - .offset:         42
        .size:           2
        .value_kind:     hidden_remainder_x
      - .offset:         44
        .size:           2
        .value_kind:     hidden_remainder_y
      - .offset:         46
        .size:           2
        .value_kind:     hidden_remainder_z
      - .offset:         64
        .size:           8
        .value_kind:     hidden_global_offset_x
      - .offset:         72
        .size:           8
        .value_kind:     hidden_global_offset_y
      - .offset:         80
        .size:           8
        .value_kind:     hidden_global_offset_z
      - .offset:         88
        .size:           2
        .value_kind:     hidden_grid_dims
    .group_segment_fixed_size: 0
    .kernarg_segment_align: 8
    .kernarg_segment_size: 280
    .language:       OpenCL C
    .language_version:
      - 2
      - 0
    .max_flat_workgroup_size: 1024
    .name:           _Z19threads_copy_kernelIcLi16EEvPKT_PS0_m
    .private_segment_fixed_size: 0
    .sgpr_count:     14
    .sgpr_spill_count: 0
    .symbol:         _Z19threads_copy_kernelIcLi16EEvPKT_PS0_m.kd
    .uniform_work_group_size: 1
    .uses_dynamic_stack: false
    .vgpr_count:     7
    .vgpr_spill_count: 0
    .wavefront_size: 64
amdhsa.target:   amdgcn-amd-amdhsa--gfx906
amdhsa.version:
  - 1
  - 2
...

	.end_amdgpu_metadata
